;; amdgpu-corpus repo=pytorch/pytorch kind=compiled arch=gfx906 opt=O3
	.amdgcn_target "amdgcn-amd-amdhsa--gfx906"
	.amdhsa_code_object_version 6
	.section	.text._ZN2at6native12_GLOBAL__N_129ctc_loss_log_alpha_gpu_kernelIdlEEvPT_PKS3_PKllPKT0_S8_lS4_llllllS8_lll,"axG",@progbits,_ZN2at6native12_GLOBAL__N_129ctc_loss_log_alpha_gpu_kernelIdlEEvPT_PKS3_PKllPKT0_S8_lS4_llllllS8_lll,comdat
	.globl	_ZN2at6native12_GLOBAL__N_129ctc_loss_log_alpha_gpu_kernelIdlEEvPT_PKS3_PKllPKT0_S8_lS4_llllllS8_lll ; -- Begin function _ZN2at6native12_GLOBAL__N_129ctc_loss_log_alpha_gpu_kernelIdlEEvPT_PKS3_PKllPKT0_S8_lS4_llllllS8_lll
	.p2align	8
	.type	_ZN2at6native12_GLOBAL__N_129ctc_loss_log_alpha_gpu_kernelIdlEEvPT_PKS3_PKllPKT0_S8_lS4_llllllS8_lll,@function
_ZN2at6native12_GLOBAL__N_129ctc_loss_log_alpha_gpu_kernelIdlEEvPT_PKS3_PKllPKT0_S8_lS4_llllllS8_lll: ; @_ZN2at6native12_GLOBAL__N_129ctc_loss_log_alpha_gpu_kernelIdlEEvPT_PKS3_PKllPKT0_S8_lS4_llllllS8_lll
; %bb.0:
	s_load_dword s0, s[4:5], 0x9c
	s_load_dwordx4 s[16:19], s[4:5], 0x78
	s_add_u32 s36, s4, 0x90
	s_addc_u32 s37, s5, 0
	v_mov_b32_e32 v8, 0
	s_waitcnt lgkmcnt(0)
	s_lshr_b32 s0, s0, 16
	s_mul_i32 s7, s7, s0
	v_add_u32_e32 v7, s7, v1
	v_cmp_gt_i64_e32 vcc, s[18:19], v[7:8]
	s_and_saveexec_b64 s[0:1], vcc
	s_cbranch_execz .LBB0_53
; %bb.1:
	s_load_dwordx2 s[0:1], s[4:5], 0x10
	s_load_dwordx2 s[2:3], s[4:5], 0x28
	;; [unrolled: 1-line block ×3, first 2 shown]
	v_lshlrev_b64 v[1:2], 3, v[7:8]
	s_waitcnt lgkmcnt(0)
	v_mov_b32_e32 v4, s1
	v_add_co_u32_e32 v3, vcc, s0, v1
	v_addc_co_u32_e32 v4, vcc, v4, v2, vcc
	global_load_dwordx2 v[5:6], v[3:4], off
	v_mov_b32_e32 v4, s3
	v_add_co_u32_e32 v3, vcc, s2, v1
	v_addc_co_u32_e32 v4, vcc, v4, v2, vcc
	global_load_dwordx2 v[3:4], v[3:4], off
	s_waitcnt vmcnt(1)
	v_cmp_ne_u64_e32 vcc, 0, v[5:6]
	s_and_saveexec_b64 s[0:1], vcc
	s_xor_b64 s[14:15], exec, s[0:1]
	s_cbranch_execz .LBB0_50
; %bb.2:
	s_load_dwordx2 s[0:1], s[4:5], 0x70
	s_load_dwordx4 s[20:23], s[4:5], 0x60
                                        ; implicit-def: $vgpr58 : SGPR spill to VGPR lane
	s_load_dwordx2 s[30:31], s[4:5], 0x88
	v_writelane_b32 v58, s14, 0
	v_writelane_b32 v58, s15, 1
	s_waitcnt lgkmcnt(0)
	v_mov_b32_e32 v9, s1
	v_add_co_u32_e32 v8, vcc, s0, v1
	v_addc_co_u32_e32 v9, vcc, v9, v2, vcc
	global_load_dwordx2 v[9:10], v[8:9], off
	v_writelane_b32 v58, s12, 2
	v_writelane_b32 v58, s13, 3
	s_load_dwordx8 s[8:15], s[4:5], 0x40
	s_load_dwordx4 s[24:27], s[4:5], 0x0
	s_load_dwordx2 s[6:7], s[4:5], 0x20
	s_load_dwordx2 s[0:1], s[4:5], 0x30
	s_waitcnt lgkmcnt(0)
	v_mad_u64_u32 v[11:12], s[2:3], s10, v7, 0
	v_mad_u64_u32 v[13:14], s[2:3], s14, v7, 0
	v_mov_b32_e32 v8, v12
	v_cmp_gt_i64_e64 s[18:19], s[0:1], -1
	v_mov_b32_e32 v12, v14
	s_and_b64 vcc, exec, s[18:19]
	s_waitcnt vmcnt(0)
	v_mad_u64_u32 v[14:15], s[2:3], s11, v7, v[8:9]
	v_mad_u64_u32 v[7:8], s[2:3], s15, v7, v[12:13]
	v_mov_b32_e32 v12, v14
	v_lshlrev_b64 v[19:20], 3, v[11:12]
	v_mov_b32_e32 v14, v7
	v_lshlrev_b64 v[7:8], 3, v[13:14]
	v_lshlrev_b64 v[11:12], 3, v[9:10]
	s_lshl_b64 s[10:11], s[0:1], 1
	s_cbranch_vccz .LBB0_17
; %bb.3:
	s_mul_i32 s2, s30, s13
	s_mul_hi_u32 s3, s30, s12
	v_mad_u64_u32 v[15:16], s[28:29], s22, v0, 0
	v_mov_b32_e32 v10, s7
	v_add_co_u32_e32 v9, vcc, s6, v11
	s_add_i32 s2, s3, s2
	s_mul_i32 s3, s31, s12
	v_addc_co_u32_e32 v10, vcc, v10, v12, vcc
	s_add_i32 s3, s2, s3
	s_mul_i32 s2, s30, s12
	v_mov_b32_e32 v13, s27
	v_add_co_u32_e32 v23, vcc, s26, v19
	s_lshl_b64 s[2:3], s[2:3], 3
	v_addc_co_u32_e32 v24, vcc, v13, v20, vcc
	v_mov_b32_e32 v14, s3
	v_mov_b32_e32 v13, v16
	v_mad_u64_u32 v[16:17], s[28:29], s23, v0, v[13:14]
	s_load_dword s3, s[36:37], 0xc
	v_add_co_u32_e32 v13, vcc, s2, v23
	v_lshlrev_b64 v[15:16], 3, v[15:16]
	v_addc_co_u32_e32 v14, vcc, v24, v14, vcc
	s_waitcnt lgkmcnt(0)
	s_and_b32 s28, s3, 0xffff
	v_add_co_u32_e32 v15, vcc, v15, v7
	v_addc_co_u32_e32 v16, vcc, v16, v8, vcc
	s_mul_i32 s2, s23, s28
	s_mul_hi_u32 s3, s22, s28
	v_cmp_ne_u64_e64 s[0:1], 0, v[3:4]
	v_mov_b32_e32 v17, s25
	v_add_co_u32_e32 v15, vcc, s24, v15
	s_add_i32 s3, s3, s2
	s_mul_i32 s2, s22, s28
	s_mov_b64 s[14:15], 0
	v_addc_co_u32_e32 v16, vcc, v17, v16, vcc
	s_lshl_b64 s[34:35], s[2:3], 3
	s_branch .LBB0_5
.LBB0_4:                                ;   in Loop: Header=BB0_5 Depth=1
	s_or_b64 exec, exec, s[2:3]
	s_add_u32 s14, s14, s28
	v_mov_b32_e32 v18, s11
	s_addc_u32 s15, s15, 0
	v_mov_b32_e32 v17, s10
	v_cmp_gt_i64_e32 vcc, s[14:15], v[17:18]
	s_waitcnt vmcnt(0)
	v_mov_b32_e32 v21, s35
	v_add_co_u32_e64 v15, s[2:3], s34, v15
	v_addc_co_u32_e64 v16, s[2:3], v16, v21, s[2:3]
	s_cbranch_vccnz .LBB0_17
.LBB0_5:                                ; =>This Inner Loop Header: Depth=1
	v_mov_b32_e32 v18, s15
	v_add_co_u32_e32 v17, vcc, s14, v0
	v_addc_co_u32_e32 v18, vcc, 0, v18, vcc
	v_cmp_lt_i64_e32 vcc, 0, v[17:18]
                                        ; implicit-def: $vgpr21_vgpr22
	s_and_saveexec_b64 s[2:3], vcc
	s_xor_b64 s[2:3], exec, s[2:3]
	s_cbranch_execnz .LBB0_8
; %bb.6:                                ;   in Loop: Header=BB0_5 Depth=1
	s_andn2_saveexec_b64 s[2:3], s[2:3]
	s_cbranch_execnz .LBB0_13
.LBB0_7:                                ;   in Loop: Header=BB0_5 Depth=1
	s_or_b64 exec, exec, s[2:3]
	v_cmp_ge_i64_e32 vcc, s[10:11], v[17:18]
	s_and_saveexec_b64 s[2:3], vcc
	s_cbranch_execz .LBB0_4
	s_branch .LBB0_16
.LBB0_8:                                ;   in Loop: Header=BB0_5 Depth=1
	v_cmp_eq_u64_e32 vcc, 1, v[17:18]
	v_mov_b32_e32 v21, 0
	v_mov_b32_e32 v22, 0xfff00000
	s_and_saveexec_b64 s[38:39], vcc
	s_cbranch_execz .LBB0_12
; %bb.9:                                ;   in Loop: Header=BB0_5 Depth=1
	v_mov_b32_e32 v21, 0
	v_mov_b32_e32 v22, 0xfff00000
	s_and_saveexec_b64 s[40:41], s[0:1]
	s_cbranch_execz .LBB0_11
; %bb.10:                               ;   in Loop: Header=BB0_5 Depth=1
	global_load_dwordx2 v[21:22], v[9:10], off
	s_waitcnt vmcnt(0)
	v_mul_lo_u32 v25, v22, s12
	v_mul_lo_u32 v26, v21, s13
	v_mad_u64_u32 v[21:22], s[42:43], v21, s12, 0
	v_add3_u32 v22, v22, v26, v25
	v_lshlrev_b64 v[21:22], 3, v[21:22]
	v_add_co_u32_e32 v21, vcc, v23, v21
	v_addc_co_u32_e32 v22, vcc, v24, v22, vcc
	global_load_dwordx2 v[21:22], v[21:22], off
.LBB0_11:                               ;   in Loop: Header=BB0_5 Depth=1
	s_or_b64 exec, exec, s[40:41]
.LBB0_12:                               ;   in Loop: Header=BB0_5 Depth=1
	s_or_b64 exec, exec, s[38:39]
	s_andn2_saveexec_b64 s[2:3], s[2:3]
	s_cbranch_execz .LBB0_7
.LBB0_13:                               ;   in Loop: Header=BB0_5 Depth=1
	v_cmp_eq_u64_e32 vcc, 0, v[17:18]
	s_waitcnt vmcnt(0)
	v_mov_b32_e32 v21, 0
	v_mov_b32_e32 v22, 0xfff00000
	s_and_saveexec_b64 s[38:39], vcc
	s_cbranch_execz .LBB0_15
; %bb.14:                               ;   in Loop: Header=BB0_5 Depth=1
	global_load_dwordx2 v[21:22], v[13:14], off
.LBB0_15:                               ;   in Loop: Header=BB0_5 Depth=1
	s_or_b64 exec, exec, s[38:39]
	s_or_b64 exec, exec, s[2:3]
	v_cmp_ge_i64_e32 vcc, s[10:11], v[17:18]
	s_and_saveexec_b64 s[2:3], vcc
	s_cbranch_execz .LBB0_4
.LBB0_16:                               ;   in Loop: Header=BB0_5 Depth=1
	s_waitcnt vmcnt(0)
	global_store_dwordx2 v[15:16], v[21:22], off
	s_branch .LBB0_4
.LBB0_17:
	v_cmp_lt_i64_e64 s[0:1], 0, v[3:4]
	s_andn2_b64 vcc, exec, s[18:19]
	s_cbranch_vccnz .LBB0_45
; %bb.18:
	v_mad_u64_u32 v[13:14], s[2:3], s22, v0, 0
	s_load_dwordx2 s[14:15], s[4:5], 0x18
	s_lshl_b64 s[38:39], s[20:21], 3
	s_load_dword s4, s[36:37], 0xc
	v_mad_u64_u32 v[14:15], s[2:3], s23, v0, v[14:15]
	v_mov_b32_e32 v16, s7
	v_add_co_u32_e32 v43, vcc, s6, v11
	s_waitcnt lgkmcnt(0)
	s_and_b32 s33, s4, 0xffff
	v_lshlrev_b64 v[13:14], 3, v[13:14]
	s_add_u32 s2, s24, s38
	v_addc_co_u32_e32 v44, vcc, v16, v12, vcc
	s_addc_u32 s3, s25, s39
	v_mov_b32_e32 v12, s3
	v_add_co_u32_e32 v11, vcc, s2, v13
	v_addc_co_u32_e32 v12, vcc, v12, v14, vcc
	v_add_co_u32_e32 v15, vcc, -2, v0
	v_addc_co_u32_e64 v16, s[2:3], 0, -1, vcc
	v_mul_lo_u32 v18, s23, v15
	v_mul_lo_u32 v21, s22, v16
	v_mad_u64_u32 v[15:16], s[2:3], s22, v15, 0
	v_mov_b32_e32 v17, s25
	v_add_co_u32_e32 v13, vcc, s24, v13
	v_add3_u32 v16, v16, v21, v18
	v_lshlrev_b64 v[15:16], 3, v[15:16]
	v_addc_co_u32_e32 v14, vcc, v17, v14, vcc
	v_add_co_u32_e32 v15, vcc, s24, v15
	v_addc_co_u32_e32 v16, vcc, v17, v16, vcc
	v_add_co_u32_e32 v17, vcc, -1, v0
	v_addc_co_u32_e64 v18, s[2:3], 0, -1, vcc
	v_mul_lo_u32 v21, s23, v17
	v_mul_lo_u32 v22, s22, v18
	v_mad_u64_u32 v[17:18], s[2:3], s22, v17, 0
	s_mul_i32 s4, s23, s33
	s_mul_hi_u32 s5, s22, s33
	v_add3_u32 v18, v18, v22, v21
	s_add_i32 s3, s5, s4
	s_mul_i32 s2, s22, s33
	v_lshlrev_b64 v[17:18], 3, v[17:18]
	s_lshl_b64 s[40:41], s[2:3], 3
	s_lshl_b64 s[8:9], s[8:9], 3
	v_mov_b32_e32 v21, s25
	v_add_co_u32_e32 v17, vcc, s24, v17
	s_add_u32 s2, s26, s8
	v_addc_co_u32_e32 v18, vcc, v21, v18, vcc
	s_addc_u32 s3, s27, s9
	v_lshlrev_b64 v[9:10], 1, v[3:4]
	v_cmp_gt_i64_e64 s[36:37], s[14:15], 1
	v_mov_b32_e32 v21, s3
	v_add_co_u32_e32 v19, vcc, s2, v19
	s_mov_b32 s26, 0x652b82fe
	s_mov_b32 s42, 0xfefa39ef
	;; [unrolled: 1-line block ×21, first 2 shown]
	s_mov_b64 s[34:35], 0
	v_addc_co_u32_e32 v20, vcc, v21, v20, vcc
	s_lshl_b64 s[12:13], s[12:13], 3
	s_mov_b32 s27, 0x3ff71547
	s_mov_b32 s43, 0xbfe62e42
	;; [unrolled: 1-line block ×18, first 2 shown]
	v_mov_b32_e32 v45, 0x7ff00000
	v_mov_b32_e32 v21, 0x6b47b09a
	;; [unrolled: 1-line block ×3, first 2 shown]
	s_mov_b32 s77, 0x3fd99999
	v_mov_b32_e32 v47, 0xfff00000
	v_mov_b32_e32 v22, 0x3fc38538
	s_mov_b32 s79, 0x40900000
	s_mov_b32 s81, 0xc090cc00
	s_mov_b32 s82, 0x55555780
	s_mov_b32 s85, 0x3fe62e42
	s_mov_b32 s87, 0x3c7abc9e
	s_branch .LBB0_20
.LBB0_19:                               ;   in Loop: Header=BB0_20 Depth=1
	v_mov_b32_e32 v25, s41
	v_add_co_u32_e32 v11, vcc, s40, v11
	v_addc_co_u32_e32 v12, vcc, v12, v25, vcc
	v_add_co_u32_e32 v13, vcc, s40, v13
	v_addc_co_u32_e32 v14, vcc, v14, v25, vcc
	s_add_u32 s34, s34, s33
	v_add_co_u32_e32 v15, vcc, s40, v15
	v_mov_b32_e32 v24, s11
	s_addc_u32 s35, s35, 0
	v_addc_co_u32_e32 v16, vcc, v16, v25, vcc
	v_mov_b32_e32 v23, s10
	v_cmp_gt_i64_e32 vcc, s[34:35], v[23:24]
	v_add_co_u32_e64 v17, s[2:3], s40, v17
	v_addc_co_u32_e64 v18, s[2:3], v18, v25, s[2:3]
	s_cbranch_vccnz .LBB0_45
.LBB0_20:                               ; =>This Loop Header: Depth=1
                                        ;     Child Loop BB0_31 Depth 2
	v_mov_b32_e32 v23, s35
	v_add_co_u32_e32 v25, vcc, s34, v0
	v_addc_co_u32_e32 v26, vcc, 0, v23, vcc
	v_cmp_le_i64_e64 s[4:5], v[25:26], v[9:10]
	s_waitcnt vmcnt(0)
	v_mov_b32_e32 v27, s30
	s_and_b64 s[2:3], s[0:1], s[4:5]
	v_mov_b32_e32 v28, s31
	s_mov_b64 s[88:89], 0
	s_and_saveexec_b64 s[6:7], s[2:3]
	s_cbranch_execz .LBB0_28
; %bb.21:                               ;   in Loop: Header=BB0_20 Depth=1
	v_and_b32_e32 v23, 1, v25
	v_mov_b32_e32 v27, s30
	v_cmp_eq_u32_e32 vcc, 1, v23
	v_mov_b32_e32 v28, s31
	s_and_saveexec_b64 s[18:19], vcc
	s_cbranch_execz .LBB0_23
; %bb.22:                               ;   in Loop: Header=BB0_20 Depth=1
	v_alignbit_b32 v23, v26, v25, 1
	v_lshrrev_b32_e32 v28, 1, v26
	v_mul_lo_u32 v27, v23, s17
	v_mad_u64_u32 v[23:24], s[2:3], v23, s16, 0
	v_mul_lo_u32 v28, v28, s16
	v_add3_u32 v24, v24, v27, v28
	v_lshlrev_b64 v[23:24], 3, v[23:24]
	v_add_co_u32_e64 v23, s[2:3], v43, v23
	v_addc_co_u32_e64 v24, s[2:3], v44, v24, s[2:3]
	global_load_dwordx2 v[27:28], v[23:24], off
.LBB0_23:                               ;   in Loop: Header=BB0_20 Depth=1
	s_or_b64 exec, exec, s[18:19]
	v_cmp_lt_u64_e64 s[2:3], 1, v[25:26]
	s_and_saveexec_b64 s[18:19], s[2:3]
	s_cbranch_execz .LBB0_27
; %bb.24:                               ;   in Loop: Header=BB0_20 Depth=1
	v_mov_b32_e32 v23, s30
	v_mov_b32_e32 v24, s31
	s_and_saveexec_b64 s[2:3], vcc
	s_cbranch_execz .LBB0_26
; %bb.25:                               ;   in Loop: Header=BB0_20 Depth=1
	v_add_co_u32_e32 v23, vcc, -2, v25
	v_addc_co_u32_e32 v24, vcc, -1, v26, vcc
	v_lshrrev_b32_e32 v29, 31, v24
	v_add_co_u32_e32 v23, vcc, v23, v29
	v_addc_co_u32_e32 v24, vcc, 0, v24, vcc
	v_ashrrev_i64 v[23:24], 1, v[23:24]
	v_mul_lo_u32 v29, v24, s16
	v_mul_lo_u32 v30, v23, s17
	v_mad_u64_u32 v[23:24], s[28:29], v23, s16, 0
	v_add3_u32 v24, v24, v30, v29
	v_lshlrev_b64 v[23:24], 3, v[23:24]
	v_add_co_u32_e32 v23, vcc, v43, v23
	v_addc_co_u32_e32 v24, vcc, v44, v24, vcc
	global_load_dwordx2 v[23:24], v[23:24], off
.LBB0_26:                               ;   in Loop: Header=BB0_20 Depth=1
	s_or_b64 exec, exec, s[2:3]
	s_waitcnt vmcnt(0)
	v_cmp_ne_u64_e32 vcc, v[23:24], v[27:28]
	s_and_b64 s[88:89], vcc, exec
.LBB0_27:                               ;   in Loop: Header=BB0_20 Depth=1
	s_or_b64 exec, exec, s[18:19]
	s_and_b64 s[88:89], s[88:89], exec
.LBB0_28:                               ;   in Loop: Header=BB0_20 Depth=1
	s_or_b64 exec, exec, s[6:7]
	s_andn2_b64 vcc, exec, s[36:37]
	s_cbranch_vccnz .LBB0_19
; %bb.29:                               ;   in Loop: Header=BB0_20 Depth=1
	s_waitcnt vmcnt(0)
	v_mad_u64_u32 v[23:24], s[2:3], s12, v27, v[19:20]
	v_mul_lo_u32 v28, s12, v28
	v_mul_lo_u32 v27, s13, v27
	v_cmp_ge_i64_e32 vcc, s[10:11], v[25:26]
	v_cmp_ne_u64_e64 s[2:3], 0, v[25:26]
	v_mov_b32_e32 v26, v18
	v_add3_u32 v24, v27, v24, v28
	v_mov_b32_e32 v28, v16
	v_mov_b32_e32 v30, v14
	;; [unrolled: 1-line block ×3, first 2 shown]
	s_mov_b64 s[90:91], 1
	s_xor_b64 s[92:93], s[4:5], -1
	v_mov_b32_e32 v25, v17
	v_mov_b32_e32 v27, v15
	;; [unrolled: 1-line block ×4, first 2 shown]
	s_branch .LBB0_31
.LBB0_30:                               ;   in Loop: Header=BB0_31 Depth=2
	s_or_b64 exec, exec, s[6:7]
	v_mov_b32_e32 v33, s39
	v_add_co_u32_e64 v31, s[4:5], s38, v31
	v_addc_co_u32_e64 v32, s[4:5], v32, v33, s[4:5]
	v_add_co_u32_e64 v29, s[4:5], s38, v29
	v_addc_co_u32_e64 v30, s[4:5], v30, v33, s[4:5]
	;; [unrolled: 2-line block ×3, first 2 shown]
	v_add_co_u32_e64 v25, s[4:5], s38, v25
	s_add_u32 s90, s90, 1
	v_addc_co_u32_e64 v26, s[4:5], v26, v33, s[4:5]
	s_addc_u32 s91, s91, 0
	v_mov_b32_e32 v33, s9
	v_add_co_u32_e64 v23, s[4:5], s8, v23
	s_cmp_eq_u64 s[14:15], s[90:91]
	v_addc_co_u32_e64 v24, s[4:5], v24, v33, s[4:5]
	s_cbranch_scc1 .LBB0_19
.LBB0_31:                               ;   Parent Loop BB0_20 Depth=1
                                        ; =>  This Inner Loop Header: Depth=2
	v_cmp_ge_i64_e64 s[4:5], s[90:91], v[5:6]
	s_mov_b64 s[94:95], 0
	s_or_b64 s[4:5], s[92:93], s[4:5]
	s_waitcnt vmcnt(0)
	s_barrier
	s_and_saveexec_b64 s[6:7], s[4:5]
	s_xor_b64 s[4:5], exec, s[6:7]
; %bb.32:                               ;   in Loop: Header=BB0_31 Depth=2
	s_and_b64 s[94:95], vcc, exec
; %bb.33:                               ;   in Loop: Header=BB0_31 Depth=2
	s_or_saveexec_b64 s[18:19], s[4:5]
	v_mov_b32_e32 v33, 0
	v_mov_b32_e32 v34, 0xfff00000
	s_xor_b64 exec, exec, s[18:19]
	s_cbranch_execz .LBB0_43
; %bb.34:                               ;   in Loop: Header=BB0_31 Depth=2
	v_add_co_u32_e64 v33, s[4:5], v29, v7
	v_addc_co_u32_e64 v34, s[4:5], v30, v8, s[4:5]
	global_load_dwordx2 v[39:40], v[33:34], off
	v_mov_b32_e32 v35, 0
	v_mov_b32_e32 v37, 0
	;; [unrolled: 1-line block ×4, first 2 shown]
	s_waitcnt vmcnt(0)
	v_mov_b32_e32 v33, v39
	v_mov_b32_e32 v34, v40
	s_and_saveexec_b64 s[6:7], s[2:3]
	s_cbranch_execz .LBB0_38
; %bb.35:                               ;   in Loop: Header=BB0_31 Depth=2
	v_add_co_u32_e64 v33, s[4:5], v25, v7
	v_addc_co_u32_e64 v34, s[4:5], v26, v8, s[4:5]
	global_load_dwordx2 v[37:38], v[33:34], off
	v_mov_b32_e32 v33, v39
	v_mov_b32_e32 v34, v40
	s_waitcnt vmcnt(0)
	v_cmp_gt_f64_e64 s[4:5], v[37:38], v[39:40]
	s_and_saveexec_b64 s[28:29], s[4:5]
; %bb.36:                               ;   in Loop: Header=BB0_31 Depth=2
	v_mov_b32_e32 v33, v37
	v_mov_b32_e32 v34, v38
; %bb.37:                               ;   in Loop: Header=BB0_31 Depth=2
	s_or_b64 exec, exec, s[28:29]
.LBB0_38:                               ;   in Loop: Header=BB0_31 Depth=2
	s_or_b64 exec, exec, s[6:7]
	s_and_saveexec_b64 s[6:7], s[88:89]
	s_cbranch_execz .LBB0_42
; %bb.39:                               ;   in Loop: Header=BB0_31 Depth=2
	v_add_co_u32_e64 v35, s[4:5], v27, v7
	v_addc_co_u32_e64 v36, s[4:5], v28, v8, s[4:5]
	global_load_dwordx2 v[35:36], v[35:36], off
	s_waitcnt vmcnt(0)
	v_cmp_gt_f64_e64 s[4:5], v[35:36], v[33:34]
	s_and_saveexec_b64 s[28:29], s[4:5]
; %bb.40:                               ;   in Loop: Header=BB0_31 Depth=2
	v_mov_b32_e32 v33, v35
	v_mov_b32_e32 v34, v36
; %bb.41:                               ;   in Loop: Header=BB0_31 Depth=2
	s_or_b64 exec, exec, s[28:29]
.LBB0_42:                               ;   in Loop: Header=BB0_31 Depth=2
	s_or_b64 exec, exec, s[6:7]
	s_mov_b32 s4, 0
	s_mov_b32 s5, 0xfff00000
	v_cmp_neq_f64_e64 s[4:5], s[4:5], v[33:34]
	s_mov_b32 s83, s67
	s_mov_b32 s84, s42
	;; [unrolled: 1-line block ×3, first 2 shown]
	s_or_b64 s[94:95], s[94:95], exec
	v_cndmask_b32_e64 v34, 0, v34, s[4:5]
	v_cndmask_b32_e64 v33, 0, v33, s[4:5]
	v_add_f64 v[41:42], v[39:40], -v[33:34]
	v_add_f64 v[37:38], v[37:38], -v[33:34]
	;; [unrolled: 1-line block ×3, first 2 shown]
	v_mul_f64 v[39:40], v[41:42], s[26:27]
	v_cmp_nlt_f64_e64 s[4:5], s[78:79], v[41:42]
	v_cmp_ngt_f64_e64 s[6:7], s[80:81], v[41:42]
	v_rndne_f64_e32 v[48:49], v[39:40]
	v_fma_f64 v[39:40], v[48:49], s[42:43], v[41:42]
	v_fma_f64 v[50:51], v[48:49], s[44:45], v[39:40]
	v_mov_b32_e32 v39, s46
	v_mov_b32_e32 v40, s47
	v_cvt_i32_f64_e32 v48, v[48:49]
	v_fma_f64 v[52:53], v[50:51], s[48:49], v[39:40]
	v_fma_f64 v[52:53], v[50:51], v[52:53], s[50:51]
	;; [unrolled: 1-line block ×9, first 2 shown]
	v_fma_f64 v[52:53], v[50:51], v[52:53], 1.0
	v_fma_f64 v[50:51], v[50:51], v[52:53], 1.0
	v_ldexp_f64 v[48:49], v[50:51], v48
	v_cndmask_b32_e64 v49, v45, v49, s[4:5]
	s_and_b64 s[4:5], s[6:7], s[4:5]
	v_cndmask_b32_e64 v41, 0, v48, s[4:5]
	v_cndmask_b32_e64 v42, 0, v49, s[6:7]
	v_mul_f64 v[48:49], v[37:38], s[26:27]
	v_cmp_nlt_f64_e64 s[4:5], s[78:79], v[37:38]
	v_cmp_ngt_f64_e64 s[6:7], s[80:81], v[37:38]
	v_rndne_f64_e32 v[48:49], v[48:49]
	v_fma_f64 v[50:51], v[48:49], s[42:43], v[37:38]
	v_fma_f64 v[50:51], v[48:49], s[44:45], v[50:51]
	v_cvt_i32_f64_e32 v48, v[48:49]
	v_fma_f64 v[52:53], v[50:51], s[48:49], v[39:40]
	v_fma_f64 v[52:53], v[50:51], v[52:53], s[50:51]
	;; [unrolled: 1-line block ×9, first 2 shown]
	v_fma_f64 v[52:53], v[50:51], v[52:53], 1.0
	v_fma_f64 v[50:51], v[50:51], v[52:53], 1.0
	v_ldexp_f64 v[48:49], v[50:51], v48
	v_cndmask_b32_e64 v49, v45, v49, s[4:5]
	s_and_b64 s[4:5], s[6:7], s[4:5]
	v_cndmask_b32_e64 v37, 0, v48, s[4:5]
	v_cndmask_b32_e64 v38, 0, v49, s[6:7]
	v_add_f64 v[37:38], v[41:42], v[37:38]
	v_mul_f64 v[41:42], v[35:36], s[26:27]
	v_cmp_nlt_f64_e64 s[4:5], s[78:79], v[35:36]
	v_cmp_ngt_f64_e64 s[6:7], s[80:81], v[35:36]
	v_rndne_f64_e32 v[41:42], v[41:42]
	v_fma_f64 v[48:49], v[41:42], s[42:43], v[35:36]
	v_fma_f64 v[48:49], v[41:42], s[44:45], v[48:49]
	v_cvt_i32_f64_e32 v41, v[41:42]
	v_fma_f64 v[39:40], v[48:49], s[48:49], v[39:40]
	v_fma_f64 v[39:40], v[48:49], v[39:40], s[50:51]
	;; [unrolled: 1-line block ×9, first 2 shown]
	v_fma_f64 v[39:40], v[48:49], v[39:40], 1.0
	v_fma_f64 v[39:40], v[48:49], v[39:40], 1.0
	v_ldexp_f64 v[39:40], v[39:40], v41
	v_cndmask_b32_e64 v40, v45, v40, s[4:5]
	s_and_b64 s[4:5], s[6:7], s[4:5]
	v_cndmask_b32_e64 v35, 0, v39, s[4:5]
	v_cndmask_b32_e64 v36, 0, v40, s[6:7]
	v_add_f64 v[35:36], v[35:36], v[37:38]
	v_frexp_mant_f64_e32 v[37:38], v[35:36]
	v_frexp_exp_i32_f64_e32 v40, v[35:36]
	v_cmp_gt_f64_e64 s[4:5], s[66:67], v[37:38]
	v_cndmask_b32_e64 v39, 0, 1, s[4:5]
	v_ldexp_f64 v[38:39], v[37:38], v39
	v_subbrev_co_u32_e64 v37, s[4:5], 0, v40, s[4:5]
	s_movk_i32 s4, 0x204
	v_cmp_class_f64_e64 s[4:5], v[35:36], s4
	v_add_f64 v[48:49], v[38:39], 1.0
	v_add_f64 v[40:41], v[38:39], -1.0
	v_add_f64 v[50:51], v[48:49], -1.0
	v_add_f64 v[38:39], v[38:39], -v[50:51]
	v_rcp_f64_e32 v[50:51], v[48:49]
	v_fma_f64 v[52:53], -v[48:49], v[50:51], 1.0
	v_fma_f64 v[50:51], v[52:53], v[50:51], v[50:51]
	v_fma_f64 v[52:53], -v[48:49], v[50:51], 1.0
	v_fma_f64 v[50:51], v[52:53], v[50:51], v[50:51]
	v_mul_f64 v[52:53], v[40:41], v[50:51]
	v_mul_f64 v[54:55], v[48:49], v[52:53]
	v_fma_f64 v[48:49], v[52:53], v[48:49], -v[54:55]
	v_fma_f64 v[38:39], v[52:53], v[38:39], v[48:49]
	v_add_f64 v[48:49], v[54:55], v[38:39]
	v_add_f64 v[56:57], v[40:41], -v[48:49]
	v_add_f64 v[54:55], v[48:49], -v[54:55]
	;; [unrolled: 1-line block ×5, first 2 shown]
	v_add_f64 v[38:39], v[38:39], v[40:41]
	v_add_f64 v[38:39], v[56:57], v[38:39]
	v_mul_f64 v[38:39], v[50:51], v[38:39]
	v_add_f64 v[40:41], v[52:53], v[38:39]
	v_add_f64 v[48:49], v[40:41], -v[52:53]
	v_ldexp_f64 v[52:53], v[40:41], 1
	v_add_f64 v[38:39], v[38:39], -v[48:49]
	v_mul_f64 v[48:49], v[40:41], v[40:41]
	v_ldexp_f64 v[38:39], v[38:39], 1
	v_fma_f64 v[50:51], v[48:49], s[68:69], v[21:22]
	v_mul_f64 v[40:41], v[40:41], v[48:49]
	v_fma_f64 v[50:51], v[48:49], v[50:51], s[70:71]
	v_fma_f64 v[50:51], v[48:49], v[50:51], s[72:73]
	;; [unrolled: 1-line block ×5, first 2 shown]
	v_mul_f64 v[40:41], v[40:41], v[50:51]
	v_add_f64 v[48:49], v[52:53], v[40:41]
	v_add_f64 v[50:51], v[48:49], -v[52:53]
	v_add_f64 v[40:41], v[40:41], -v[50:51]
	v_add_f64 v[38:39], v[38:39], v[40:41]
	v_add_f64 v[40:41], v[48:49], v[38:39]
	v_add_f64 v[48:49], v[40:41], -v[48:49]
	v_add_f64 v[38:39], v[38:39], -v[48:49]
	v_cvt_f64_i32_e32 v[48:49], v37
	v_mul_f64 v[50:51], v[48:49], s[84:85]
	v_fma_f64 v[52:53], v[48:49], s[84:85], -v[50:51]
	v_fma_f64 v[48:49], v[48:49], s[86:87], v[52:53]
	v_add_f64 v[52:53], v[50:51], v[48:49]
	v_add_f64 v[50:51], v[52:53], -v[50:51]
	v_add_f64 v[48:49], v[48:49], -v[50:51]
	v_add_f64 v[50:51], v[52:53], v[40:41]
	v_add_f64 v[54:55], v[50:51], -v[52:53]
	v_add_f64 v[56:57], v[50:51], -v[54:55]
	;; [unrolled: 1-line block ×4, first 2 shown]
	v_add_f64 v[40:41], v[40:41], v[52:53]
	v_add_f64 v[52:53], v[48:49], v[38:39]
	v_add_f64 v[54:55], v[52:53], -v[48:49]
	v_add_f64 v[56:57], v[52:53], -v[54:55]
	;; [unrolled: 1-line block ×3, first 2 shown]
	v_add_f64 v[39:40], v[52:53], v[40:41]
	v_add_f64 v[48:49], v[48:49], -v[56:57]
	v_add_f64 v[41:42], v[50:51], v[39:40]
	v_add_f64 v[37:38], v[37:38], v[48:49]
	v_add_f64 v[48:49], v[41:42], -v[50:51]
	v_add_f64 v[39:40], v[39:40], -v[48:49]
	v_add_f64 v[37:38], v[37:38], v[39:40]
	v_add_f64 v[37:38], v[41:42], v[37:38]
	v_cndmask_b32_e64 v37, v37, v35, s[4:5]
	v_cndmask_b32_e64 v38, v38, v36, s[4:5]
	v_cmp_ngt_f64_e64 s[4:5], 0, v[35:36]
	v_cndmask_b32_e64 v38, v46, v38, s[4:5]
	v_cmp_nge_f64_e64 s[4:5], 0, v[35:36]
	v_cndmask_b32_e64 v37, 0, v37, s[4:5]
	v_cmp_neq_f64_e64 s[4:5], 0, v[35:36]
	global_load_dwordx2 v[35:36], v[23:24], off
	v_cndmask_b32_e64 v38, v47, v38, s[4:5]
	v_add_f64 v[33:34], v[33:34], v[37:38]
	s_waitcnt vmcnt(0)
	v_add_f64 v[33:34], v[35:36], v[33:34]
.LBB0_43:                               ;   in Loop: Header=BB0_31 Depth=2
	s_or_b64 exec, exec, s[18:19]
	s_and_saveexec_b64 s[6:7], s[94:95]
	s_cbranch_execz .LBB0_30
; %bb.44:                               ;   in Loop: Header=BB0_31 Depth=2
	v_add_co_u32_e64 v35, s[4:5], v31, v7
	v_addc_co_u32_e64 v36, s[4:5], v32, v8, s[4:5]
	global_store_dwordx2 v[35:36], v[33:34], off
	s_branch .LBB0_30
.LBB0_45:
	v_cmp_eq_u32_e32 vcc, 0, v0
	s_waitcnt vmcnt(0)
	s_barrier
	s_and_saveexec_b64 s[6:7], vcc
	v_readlane_b32 s12, v58, 2
	v_readlane_b32 s14, v58, 0
	;; [unrolled: 1-line block ×4, first 2 shown]
	s_cbranch_execz .LBB0_49
; %bb.46:
	v_add_co_u32_e32 v0, vcc, -1, v5
	v_addc_co_u32_e32 v5, vcc, -1, v6, vcc
	v_mul_lo_u32 v11, v5, s20
	v_mul_lo_u32 v12, v0, s21
	v_mad_u64_u32 v[5:6], s[0:1], v0, s20, 0
	v_mul_lo_u32 v0, v4, s22
	v_mul_lo_u32 v13, v3, s23
	v_mad_u64_u32 v[9:10], s[0:1], v3, s22, 0
	v_add3_u32 v6, v6, v12, v11
	v_add_co_u32_e32 v7, vcc, s24, v7
	v_add3_u32 v10, v10, v13, v0
	v_mov_b32_e32 v0, s25
	v_lshlrev_b64 v[5:6], 3, v[5:6]
	v_addc_co_u32_e32 v8, vcc, v0, v8, vcc
	v_add_co_u32_e32 v0, vcc, v7, v5
	v_addc_co_u32_e32 v11, vcc, v8, v6, vcc
	v_lshlrev_b64 v[5:6], 4, v[9:10]
	v_mov_b32_e32 v7, 0
	v_add_co_u32_e32 v5, vcc, v0, v5
	v_addc_co_u32_e32 v6, vcc, v11, v6, vcc
	global_load_dwordx2 v[5:6], v[5:6], off
	v_cmp_lt_i64_e32 vcc, 0, v[3:4]
	v_mov_b32_e32 v8, 0xfff00000
	s_and_saveexec_b64 s[0:1], vcc
	s_cbranch_execz .LBB0_48
; %bb.47:
	v_lshlrev_b64 v[3:4], 1, v[9:10]
	v_mov_b32_e32 v7, s23
	v_subrev_co_u32_e32 v3, vcc, s22, v3
	v_subb_co_u32_e32 v4, vcc, v4, v7, vcc
	v_lshlrev_b64 v[3:4], 3, v[3:4]
	v_add_co_u32_e32 v3, vcc, v0, v3
	v_addc_co_u32_e32 v4, vcc, v11, v4, vcc
	global_load_dwordx2 v[7:8], v[3:4], off
.LBB0_48:
	s_or_b64 exec, exec, s[0:1]
	s_waitcnt vmcnt(0)
	v_cmp_gt_f64_e32 vcc, v[5:6], v[7:8]
	s_mov_b32 s0, 0
	s_mov_b32 s1, 0xfff00000
	;; [unrolled: 1-line block ×7, first 2 shown]
	v_cndmask_b32_e32 v4, v8, v6, vcc
	v_cndmask_b32_e32 v3, v7, v5, vcc
	v_cmp_neq_f64_e32 vcc, s[0:1], v[3:4]
	s_mov_b32 s0, 0x652b82fe
	s_mov_b32 s1, 0x3ff71547
	;; [unrolled: 1-line block ×5, first 2 shown]
	v_cndmask_b32_e32 v4, 0, v4, vcc
	v_cndmask_b32_e32 v3, 0, v3, vcc
	v_add_f64 v[5:6], v[5:6], -v[3:4]
	v_add_f64 v[7:8], v[7:8], -v[3:4]
	v_mul_f64 v[9:10], v[5:6], s[0:1]
	v_mul_f64 v[11:12], v[7:8], s[0:1]
	s_mov_b32 s0, 0xfca7ab0c
	s_mov_b32 s1, 0x3e928af3
	v_mov_b32_e32 v18, s1
	v_mov_b32_e32 v17, s0
	s_mov_b32 s0, 0x623fde64
	s_mov_b32 s1, 0x3ec71dee
	v_rndne_f64_e32 v[9:10], v[9:10]
	v_rndne_f64_e32 v[11:12], v[11:12]
	v_fma_f64 v[13:14], v[9:10], s[10:11], v[5:6]
	v_fma_f64 v[15:16], v[11:12], s[10:11], v[7:8]
	v_cvt_i32_f64_e32 v0, v[9:10]
	s_mov_b32 s11, 0x3fe62e42
	v_fma_f64 v[13:14], v[9:10], s[8:9], v[13:14]
	v_fma_f64 v[15:16], v[11:12], s[8:9], v[15:16]
	v_cvt_i32_f64_e32 v11, v[11:12]
	s_mov_b32 s9, 0x3c7abc9e
	v_fma_f64 v[19:20], v[13:14], s[2:3], v[17:18]
	v_fma_f64 v[17:18], v[15:16], s[2:3], v[17:18]
	s_mov_b32 s2, 0
	s_mov_b32 s3, 0x40900000
	v_cmp_nlt_f64_e32 vcc, s[2:3], v[5:6]
	v_cmp_nlt_f64_e64 s[2:3], s[2:3], v[7:8]
	v_fma_f64 v[19:20], v[13:14], v[19:20], s[0:1]
	v_fma_f64 v[17:18], v[15:16], v[17:18], s[0:1]
	s_mov_b32 s0, 0x7c89e6b0
	s_mov_b32 s1, 0x3efa0199
	v_fma_f64 v[19:20], v[13:14], v[19:20], s[0:1]
	v_fma_f64 v[17:18], v[15:16], v[17:18], s[0:1]
	s_mov_b32 s0, 0x14761f6e
	s_mov_b32 s1, 0x3f2a01a0
	v_fma_f64 v[19:20], v[13:14], v[19:20], s[0:1]
	v_fma_f64 v[17:18], v[15:16], v[17:18], s[0:1]
	s_mov_b32 s0, 0x1852b7b0
	s_mov_b32 s1, 0x3f56c16c
	v_fma_f64 v[19:20], v[13:14], v[19:20], s[0:1]
	v_fma_f64 v[17:18], v[15:16], v[17:18], s[0:1]
	s_mov_b32 s0, 0x11122322
	s_mov_b32 s1, 0x3f811111
	v_fma_f64 v[19:20], v[13:14], v[19:20], s[0:1]
	v_fma_f64 v[17:18], v[15:16], v[17:18], s[0:1]
	s_mov_b32 s0, 0x555502a1
	s_mov_b32 s1, 0x3fa55555
	v_fma_f64 v[19:20], v[13:14], v[19:20], s[0:1]
	v_fma_f64 v[17:18], v[15:16], v[17:18], s[0:1]
	s_mov_b32 s0, 0x55555511
	s_mov_b32 s1, 0x3fc55555
	v_fma_f64 v[19:20], v[13:14], v[19:20], s[0:1]
	v_fma_f64 v[17:18], v[15:16], v[17:18], s[0:1]
	s_mov_b32 s0, 11
	s_mov_b32 s1, 0x3fe00000
	v_fma_f64 v[19:20], v[13:14], v[19:20], s[0:1]
	v_fma_f64 v[17:18], v[15:16], v[17:18], s[0:1]
	v_cmp_ngt_f64_e64 s[0:1], s[4:5], v[5:6]
	v_cmp_ngt_f64_e64 s[4:5], s[4:5], v[7:8]
	v_fma_f64 v[19:20], v[13:14], v[19:20], 1.0
	v_fma_f64 v[17:18], v[15:16], v[17:18], 1.0
	v_fma_f64 v[13:14], v[13:14], v[19:20], 1.0
	v_fma_f64 v[15:16], v[15:16], v[17:18], 1.0
	v_ldexp_f64 v[9:10], v[13:14], v0
	v_ldexp_f64 v[11:12], v[15:16], v11
	v_mov_b32_e32 v0, 0x7ff00000
	v_cndmask_b32_e32 v10, v0, v10, vcc
	s_and_b64 vcc, s[0:1], vcc
	v_cndmask_b32_e64 v0, v0, v12, s[2:3]
	v_cndmask_b32_e32 v5, 0, v9, vcc
	s_and_b64 vcc, s[4:5], s[2:3]
	v_cndmask_b32_e64 v6, 0, v10, s[0:1]
	v_cndmask_b32_e64 v8, 0, v0, s[4:5]
	v_cndmask_b32_e32 v7, 0, v11, vcc
	v_add_f64 v[5:6], v[5:6], v[7:8]
	s_mov_b32 s1, 0x3fe55555
	s_mov_b32 s0, 0x55555555
	;; [unrolled: 1-line block ×4, first 2 shown]
	v_frexp_mant_f64_e32 v[7:8], v[5:6]
	v_cmp_gt_f64_e32 vcc, s[0:1], v[7:8]
	s_mov_b32 s0, 0x55555780
	v_cndmask_b32_e64 v0, 0, 1, vcc
	v_ldexp_f64 v[7:8], v[7:8], v0
	v_frexp_exp_i32_f64_e32 v0, v[5:6]
	v_add_f64 v[9:10], v[7:8], 1.0
	v_add_f64 v[15:16], v[7:8], -1.0
	v_subbrev_co_u32_e32 v0, vcc, 0, v0, vcc
	v_rcp_f64_e32 v[11:12], v[9:10]
	v_add_f64 v[17:18], v[9:10], -1.0
	v_add_f64 v[7:8], v[7:8], -v[17:18]
	v_fma_f64 v[13:14], -v[9:10], v[11:12], 1.0
	v_fma_f64 v[11:12], v[13:14], v[11:12], v[11:12]
	v_fma_f64 v[13:14], -v[9:10], v[11:12], 1.0
	v_fma_f64 v[11:12], v[13:14], v[11:12], v[11:12]
	v_mul_f64 v[13:14], v[15:16], v[11:12]
	v_mul_f64 v[19:20], v[9:10], v[13:14]
	v_fma_f64 v[9:10], v[13:14], v[9:10], -v[19:20]
	v_fma_f64 v[7:8], v[13:14], v[7:8], v[9:10]
	v_add_f64 v[9:10], v[19:20], v[7:8]
	v_add_f64 v[17:18], v[15:16], -v[9:10]
	v_add_f64 v[19:20], v[9:10], -v[19:20]
	v_add_f64 v[15:16], v[15:16], -v[17:18]
	v_add_f64 v[7:8], v[19:20], -v[7:8]
	v_add_f64 v[9:10], v[15:16], -v[9:10]
	v_mov_b32_e32 v15, 0x6b47b09a
	v_mov_b32_e32 v16, 0x3fc38538
	v_add_f64 v[7:8], v[7:8], v[9:10]
	v_add_f64 v[7:8], v[17:18], v[7:8]
	v_mul_f64 v[7:8], v[11:12], v[7:8]
	v_add_f64 v[9:10], v[13:14], v[7:8]
	v_mul_f64 v[11:12], v[9:10], v[9:10]
	v_fma_f64 v[15:16], v[11:12], s[2:3], v[15:16]
	s_mov_b32 s2, 0xd7f4df2e
	s_mov_b32 s3, 0x3fc7474d
	v_mul_f64 v[17:18], v[9:10], v[11:12]
	v_fma_f64 v[15:16], v[11:12], v[15:16], s[2:3]
	s_mov_b32 s2, 0x16291751
	s_mov_b32 s3, 0x3fcc71c0
	v_fma_f64 v[15:16], v[11:12], v[15:16], s[2:3]
	s_mov_b32 s2, 0x9b27acf1
	s_mov_b32 s3, 0x3fd24924
	;; [unrolled: 3-line block ×3, first 2 shown]
	v_fma_f64 v[15:16], v[11:12], v[15:16], s[2:3]
	v_fma_f64 v[11:12], v[11:12], v[15:16], s[0:1]
	v_ldexp_f64 v[15:16], v[9:10], 1
	v_add_f64 v[9:10], v[9:10], -v[13:14]
	s_movk_i32 s0, 0x204
	v_cmp_class_f64_e64 vcc, v[5:6], s0
	v_mul_f64 v[11:12], v[17:18], v[11:12]
	v_cvt_f64_i32_e32 v[17:18], v0
	v_add_f64 v[7:8], v[7:8], -v[9:10]
	v_mov_b32_e32 v0, 0x7ff80000
	v_mul_f64 v[19:20], v[17:18], s[10:11]
	v_add_f64 v[13:14], v[15:16], v[11:12]
	v_ldexp_f64 v[7:8], v[7:8], 1
	v_add_f64 v[9:10], v[13:14], -v[15:16]
	v_fma_f64 v[15:16], v[17:18], s[10:11], -v[19:20]
	v_add_f64 v[9:10], v[11:12], -v[9:10]
	v_fma_f64 v[11:12], v[17:18], s[8:9], v[15:16]
	v_add_f64 v[7:8], v[7:8], v[9:10]
	v_add_f64 v[9:10], v[19:20], v[11:12]
	;; [unrolled: 1-line block ×3, first 2 shown]
	v_add_f64 v[19:20], v[9:10], -v[19:20]
	v_add_f64 v[17:18], v[9:10], v[15:16]
	v_add_f64 v[13:14], v[15:16], -v[13:14]
	v_add_f64 v[11:12], v[11:12], -v[19:20]
	;; [unrolled: 1-line block ×6, first 2 shown]
	v_add_f64 v[15:16], v[11:12], v[7:8]
	v_add_f64 v[9:10], v[9:10], -v[23:24]
	v_add_f64 v[9:10], v[13:14], v[9:10]
	v_add_f64 v[13:14], v[15:16], -v[11:12]
	;; [unrolled: 2-line block ×3, first 2 shown]
	v_add_f64 v[7:8], v[7:8], -v[13:14]
	v_add_f64 v[19:20], v[17:18], v[9:10]
	v_add_f64 v[11:12], v[11:12], -v[15:16]
	v_add_f64 v[13:14], v[19:20], -v[17:18]
	v_add_f64 v[7:8], v[7:8], v[11:12]
	v_add_f64 v[9:10], v[9:10], -v[13:14]
	v_add_f64 v[7:8], v[7:8], v[9:10]
	v_mov_b32_e32 v9, 0xfff00000
	v_add_f64 v[7:8], v[19:20], v[7:8]
	v_cndmask_b32_e32 v7, v7, v5, vcc
	v_cndmask_b32_e32 v8, v8, v6, vcc
	v_cmp_ngt_f64_e32 vcc, 0, v[5:6]
	v_cndmask_b32_e32 v0, v0, v8, vcc
	v_cmp_nge_f64_e32 vcc, 0, v[5:6]
	v_cndmask_b32_e32 v7, 0, v7, vcc
	v_cmp_neq_f64_e32 vcc, 0, v[5:6]
	v_mov_b32_e32 v5, s13
	v_cndmask_b32_e32 v8, v9, v0, vcc
	v_add_f64 v[3:4], v[3:4], v[7:8]
	v_add_co_u32_e32 v0, vcc, s12, v1
	v_addc_co_u32_e32 v1, vcc, v5, v2, vcc
	v_xor_b32_e32 v4, 0x80000000, v4
	global_store_dwordx2 v[0:1], v[3:4], off
.LBB0_49:
	s_or_b64 exec, exec, s[6:7]
                                        ; implicit-def: $vgpr0
                                        ; implicit-def: $vgpr1_vgpr2
                                        ; implicit-def: $vgpr3_vgpr4
.LBB0_50:
	s_andn2_saveexec_b64 s[0:1], s[14:15]
	s_cbranch_execz .LBB0_53
; %bb.51:
	v_cmp_eq_u32_e32 vcc, 0, v0
	s_and_b64 exec, exec, vcc
	s_cbranch_execz .LBB0_53
; %bb.52:
	v_mov_b32_e32 v5, s13
	v_add_co_u32_e32 v0, vcc, s12, v1
	v_addc_co_u32_e32 v1, vcc, v5, v2, vcc
	s_waitcnt vmcnt(0)
	v_cmp_eq_u64_e32 vcc, 0, v[3:4]
	v_mov_b32_e32 v2, 0x7ff00000
	v_bfrev_b32_e32 v5, 1
	v_cndmask_b32_e32 v3, v2, v5, vcc
	v_mov_b32_e32 v2, 0
	global_store_dwordx2 v[0:1], v[2:3], off
.LBB0_53:
	s_endpgm
	.section	.rodata,"a",@progbits
	.p2align	6, 0x0
	.amdhsa_kernel _ZN2at6native12_GLOBAL__N_129ctc_loss_log_alpha_gpu_kernelIdlEEvPT_PKS3_PKllPKT0_S8_lS4_llllllS8_lll
		.amdhsa_group_segment_fixed_size 0
		.amdhsa_private_segment_fixed_size 0
		.amdhsa_kernarg_size 400
		.amdhsa_user_sgpr_count 6
		.amdhsa_user_sgpr_private_segment_buffer 1
		.amdhsa_user_sgpr_dispatch_ptr 0
		.amdhsa_user_sgpr_queue_ptr 0
		.amdhsa_user_sgpr_kernarg_segment_ptr 1
		.amdhsa_user_sgpr_dispatch_id 0
		.amdhsa_user_sgpr_flat_scratch_init 0
		.amdhsa_user_sgpr_private_segment_size 0
		.amdhsa_uses_dynamic_stack 0
		.amdhsa_system_sgpr_private_segment_wavefront_offset 0
		.amdhsa_system_sgpr_workgroup_id_x 1
		.amdhsa_system_sgpr_workgroup_id_y 1
		.amdhsa_system_sgpr_workgroup_id_z 0
		.amdhsa_system_sgpr_workgroup_info 0
		.amdhsa_system_vgpr_workitem_id 1
		.amdhsa_next_free_vgpr 59
		.amdhsa_next_free_sgpr 96
		.amdhsa_reserve_vcc 1
		.amdhsa_reserve_flat_scratch 0
		.amdhsa_float_round_mode_32 0
		.amdhsa_float_round_mode_16_64 0
		.amdhsa_float_denorm_mode_32 3
		.amdhsa_float_denorm_mode_16_64 3
		.amdhsa_dx10_clamp 1
		.amdhsa_ieee_mode 1
		.amdhsa_fp16_overflow 0
		.amdhsa_exception_fp_ieee_invalid_op 0
		.amdhsa_exception_fp_denorm_src 0
		.amdhsa_exception_fp_ieee_div_zero 0
		.amdhsa_exception_fp_ieee_overflow 0
		.amdhsa_exception_fp_ieee_underflow 0
		.amdhsa_exception_fp_ieee_inexact 0
		.amdhsa_exception_int_div_zero 0
	.end_amdhsa_kernel
	.section	.text._ZN2at6native12_GLOBAL__N_129ctc_loss_log_alpha_gpu_kernelIdlEEvPT_PKS3_PKllPKT0_S8_lS4_llllllS8_lll,"axG",@progbits,_ZN2at6native12_GLOBAL__N_129ctc_loss_log_alpha_gpu_kernelIdlEEvPT_PKS3_PKllPKT0_S8_lS4_llllllS8_lll,comdat
.Lfunc_end0:
	.size	_ZN2at6native12_GLOBAL__N_129ctc_loss_log_alpha_gpu_kernelIdlEEvPT_PKS3_PKllPKT0_S8_lS4_llllllS8_lll, .Lfunc_end0-_ZN2at6native12_GLOBAL__N_129ctc_loss_log_alpha_gpu_kernelIdlEEvPT_PKS3_PKllPKT0_S8_lS4_llllllS8_lll
                                        ; -- End function
	.set _ZN2at6native12_GLOBAL__N_129ctc_loss_log_alpha_gpu_kernelIdlEEvPT_PKS3_PKllPKT0_S8_lS4_llllllS8_lll.num_vgpr, 59
	.set _ZN2at6native12_GLOBAL__N_129ctc_loss_log_alpha_gpu_kernelIdlEEvPT_PKS3_PKllPKT0_S8_lS4_llllllS8_lll.num_agpr, 0
	.set _ZN2at6native12_GLOBAL__N_129ctc_loss_log_alpha_gpu_kernelIdlEEvPT_PKS3_PKllPKT0_S8_lS4_llllllS8_lll.numbered_sgpr, 96
	.set _ZN2at6native12_GLOBAL__N_129ctc_loss_log_alpha_gpu_kernelIdlEEvPT_PKS3_PKllPKT0_S8_lS4_llllllS8_lll.num_named_barrier, 0
	.set _ZN2at6native12_GLOBAL__N_129ctc_loss_log_alpha_gpu_kernelIdlEEvPT_PKS3_PKllPKT0_S8_lS4_llllllS8_lll.private_seg_size, 0
	.set _ZN2at6native12_GLOBAL__N_129ctc_loss_log_alpha_gpu_kernelIdlEEvPT_PKS3_PKllPKT0_S8_lS4_llllllS8_lll.uses_vcc, 1
	.set _ZN2at6native12_GLOBAL__N_129ctc_loss_log_alpha_gpu_kernelIdlEEvPT_PKS3_PKllPKT0_S8_lS4_llllllS8_lll.uses_flat_scratch, 0
	.set _ZN2at6native12_GLOBAL__N_129ctc_loss_log_alpha_gpu_kernelIdlEEvPT_PKS3_PKllPKT0_S8_lS4_llllllS8_lll.has_dyn_sized_stack, 0
	.set _ZN2at6native12_GLOBAL__N_129ctc_loss_log_alpha_gpu_kernelIdlEEvPT_PKS3_PKllPKT0_S8_lS4_llllllS8_lll.has_recursion, 0
	.set _ZN2at6native12_GLOBAL__N_129ctc_loss_log_alpha_gpu_kernelIdlEEvPT_PKS3_PKllPKT0_S8_lS4_llllllS8_lll.has_indirect_call, 0
	.section	.AMDGPU.csdata,"",@progbits
; Kernel info:
; codeLenInByte = 5468
; TotalNumSgprs: 100
; NumVgprs: 59
; ScratchSize: 0
; MemoryBound: 0
; FloatMode: 240
; IeeeMode: 1
; LDSByteSize: 0 bytes/workgroup (compile time only)
; SGPRBlocks: 12
; VGPRBlocks: 14
; NumSGPRsForWavesPerEU: 100
; NumVGPRsForWavesPerEU: 59
; Occupancy: 4
; WaveLimiterHint : 1
; COMPUTE_PGM_RSRC2:SCRATCH_EN: 0
; COMPUTE_PGM_RSRC2:USER_SGPR: 6
; COMPUTE_PGM_RSRC2:TRAP_HANDLER: 0
; COMPUTE_PGM_RSRC2:TGID_X_EN: 1
; COMPUTE_PGM_RSRC2:TGID_Y_EN: 1
; COMPUTE_PGM_RSRC2:TGID_Z_EN: 0
; COMPUTE_PGM_RSRC2:TIDIG_COMP_CNT: 1
	.section	.text._ZN2at6native12_GLOBAL__N_129ctc_loss_log_alpha_gpu_kernelIdiEEvPT_PKS3_PKllPKT0_S8_lS4_llllllS8_lll,"axG",@progbits,_ZN2at6native12_GLOBAL__N_129ctc_loss_log_alpha_gpu_kernelIdiEEvPT_PKS3_PKllPKT0_S8_lS4_llllllS8_lll,comdat
	.globl	_ZN2at6native12_GLOBAL__N_129ctc_loss_log_alpha_gpu_kernelIdiEEvPT_PKS3_PKllPKT0_S8_lS4_llllllS8_lll ; -- Begin function _ZN2at6native12_GLOBAL__N_129ctc_loss_log_alpha_gpu_kernelIdiEEvPT_PKS3_PKllPKT0_S8_lS4_llllllS8_lll
	.p2align	8
	.type	_ZN2at6native12_GLOBAL__N_129ctc_loss_log_alpha_gpu_kernelIdiEEvPT_PKS3_PKllPKT0_S8_lS4_llllllS8_lll,@function
_ZN2at6native12_GLOBAL__N_129ctc_loss_log_alpha_gpu_kernelIdiEEvPT_PKS3_PKllPKT0_S8_lS4_llllllS8_lll: ; @_ZN2at6native12_GLOBAL__N_129ctc_loss_log_alpha_gpu_kernelIdiEEvPT_PKS3_PKllPKT0_S8_lS4_llllllS8_lll
; %bb.0:
	s_load_dword s0, s[4:5], 0x9c
	s_load_dwordx4 s[16:19], s[4:5], 0x78
	s_add_u32 s36, s4, 0x90
	s_addc_u32 s37, s5, 0
	v_mov_b32_e32 v8, 0
	s_waitcnt lgkmcnt(0)
	s_lshr_b32 s0, s0, 16
	s_mul_i32 s7, s7, s0
	v_add_u32_e32 v7, s7, v1
	v_cmp_gt_i64_e32 vcc, s[18:19], v[7:8]
	s_and_saveexec_b64 s[0:1], vcc
	s_cbranch_execz .LBB1_53
; %bb.1:
	s_load_dwordx2 s[0:1], s[4:5], 0x10
	s_load_dwordx2 s[2:3], s[4:5], 0x28
	;; [unrolled: 1-line block ×3, first 2 shown]
	v_lshlrev_b64 v[1:2], 3, v[7:8]
	s_waitcnt lgkmcnt(0)
	v_mov_b32_e32 v4, s1
	v_add_co_u32_e32 v3, vcc, s0, v1
	v_addc_co_u32_e32 v4, vcc, v4, v2, vcc
	global_load_dwordx2 v[5:6], v[3:4], off
	v_mov_b32_e32 v4, s3
	v_add_co_u32_e32 v3, vcc, s2, v1
	v_addc_co_u32_e32 v4, vcc, v4, v2, vcc
	global_load_dwordx2 v[3:4], v[3:4], off
	s_waitcnt vmcnt(1)
	v_cmp_ne_u64_e32 vcc, 0, v[5:6]
	s_and_saveexec_b64 s[0:1], vcc
	s_xor_b64 s[14:15], exec, s[0:1]
	s_cbranch_execz .LBB1_50
; %bb.2:
	s_load_dwordx2 s[0:1], s[4:5], 0x70
	s_load_dwordx4 s[20:23], s[4:5], 0x60
                                        ; implicit-def: $vgpr58 : SGPR spill to VGPR lane
	s_load_dwordx2 s[30:31], s[4:5], 0x88
	v_writelane_b32 v58, s14, 0
	v_writelane_b32 v58, s15, 1
	s_waitcnt lgkmcnt(0)
	v_mov_b32_e32 v9, s1
	v_add_co_u32_e32 v8, vcc, s0, v1
	v_addc_co_u32_e32 v9, vcc, v9, v2, vcc
	global_load_dwordx2 v[9:10], v[8:9], off
	v_writelane_b32 v58, s12, 2
	v_writelane_b32 v58, s13, 3
	s_load_dwordx8 s[8:15], s[4:5], 0x40
	s_load_dwordx4 s[24:27], s[4:5], 0x0
	s_load_dwordx2 s[6:7], s[4:5], 0x20
	s_load_dwordx2 s[0:1], s[4:5], 0x30
	s_waitcnt lgkmcnt(0)
	v_mad_u64_u32 v[11:12], s[2:3], s10, v7, 0
	v_mad_u64_u32 v[13:14], s[2:3], s14, v7, 0
	v_mov_b32_e32 v8, v12
	v_cmp_gt_i64_e64 s[18:19], s[0:1], -1
	v_mov_b32_e32 v12, v14
	s_and_b64 vcc, exec, s[18:19]
	s_waitcnt vmcnt(0)
	v_mad_u64_u32 v[14:15], s[2:3], s11, v7, v[8:9]
	v_mad_u64_u32 v[7:8], s[2:3], s15, v7, v[12:13]
	v_mov_b32_e32 v12, v14
	v_lshlrev_b64 v[19:20], 3, v[11:12]
	v_mov_b32_e32 v14, v7
	v_lshlrev_b64 v[7:8], 3, v[13:14]
	v_lshlrev_b64 v[11:12], 2, v[9:10]
	s_lshl_b64 s[10:11], s[0:1], 1
	s_cbranch_vccz .LBB1_17
; %bb.3:
	s_mul_i32 s2, s30, s13
	s_mul_hi_u32 s3, s30, s12
	v_mad_u64_u32 v[15:16], s[28:29], s22, v0, 0
	v_mov_b32_e32 v10, s7
	v_add_co_u32_e32 v9, vcc, s6, v11
	s_add_i32 s2, s3, s2
	s_mul_i32 s3, s31, s12
	v_addc_co_u32_e32 v10, vcc, v10, v12, vcc
	s_add_i32 s3, s2, s3
	s_mul_i32 s2, s30, s12
	v_mov_b32_e32 v13, s27
	v_add_co_u32_e32 v23, vcc, s26, v19
	s_lshl_b64 s[2:3], s[2:3], 3
	v_addc_co_u32_e32 v24, vcc, v13, v20, vcc
	v_mov_b32_e32 v14, s3
	v_mov_b32_e32 v13, v16
	v_mad_u64_u32 v[16:17], s[28:29], s23, v0, v[13:14]
	s_load_dword s3, s[36:37], 0xc
	v_add_co_u32_e32 v13, vcc, s2, v23
	v_lshlrev_b64 v[15:16], 3, v[15:16]
	v_addc_co_u32_e32 v14, vcc, v24, v14, vcc
	s_waitcnt lgkmcnt(0)
	s_and_b32 s28, s3, 0xffff
	v_add_co_u32_e32 v15, vcc, v15, v7
	v_addc_co_u32_e32 v16, vcc, v16, v8, vcc
	s_mul_i32 s2, s23, s28
	s_mul_hi_u32 s3, s22, s28
	v_cmp_ne_u64_e64 s[0:1], 0, v[3:4]
	v_mov_b32_e32 v17, s25
	v_add_co_u32_e32 v15, vcc, s24, v15
	s_add_i32 s3, s3, s2
	s_mul_i32 s2, s22, s28
	s_mov_b64 s[14:15], 0
	v_addc_co_u32_e32 v16, vcc, v17, v16, vcc
	s_lshl_b64 s[34:35], s[2:3], 3
	s_branch .LBB1_5
.LBB1_4:                                ;   in Loop: Header=BB1_5 Depth=1
	s_or_b64 exec, exec, s[2:3]
	s_add_u32 s14, s14, s28
	v_mov_b32_e32 v18, s11
	s_addc_u32 s15, s15, 0
	v_mov_b32_e32 v17, s10
	v_cmp_gt_i64_e32 vcc, s[14:15], v[17:18]
	s_waitcnt vmcnt(0)
	v_mov_b32_e32 v21, s35
	v_add_co_u32_e64 v15, s[2:3], s34, v15
	v_addc_co_u32_e64 v16, s[2:3], v16, v21, s[2:3]
	s_cbranch_vccnz .LBB1_17
.LBB1_5:                                ; =>This Inner Loop Header: Depth=1
	v_mov_b32_e32 v18, s15
	v_add_co_u32_e32 v17, vcc, s14, v0
	v_addc_co_u32_e32 v18, vcc, 0, v18, vcc
	v_cmp_lt_i64_e32 vcc, 0, v[17:18]
                                        ; implicit-def: $vgpr21_vgpr22
	s_and_saveexec_b64 s[2:3], vcc
	s_xor_b64 s[2:3], exec, s[2:3]
	s_cbranch_execnz .LBB1_8
; %bb.6:                                ;   in Loop: Header=BB1_5 Depth=1
	s_andn2_saveexec_b64 s[2:3], s[2:3]
	s_cbranch_execnz .LBB1_13
.LBB1_7:                                ;   in Loop: Header=BB1_5 Depth=1
	s_or_b64 exec, exec, s[2:3]
	v_cmp_ge_i64_e32 vcc, s[10:11], v[17:18]
	s_and_saveexec_b64 s[2:3], vcc
	s_cbranch_execz .LBB1_4
	s_branch .LBB1_16
.LBB1_8:                                ;   in Loop: Header=BB1_5 Depth=1
	v_cmp_eq_u64_e32 vcc, 1, v[17:18]
	v_mov_b32_e32 v21, 0
	v_mov_b32_e32 v22, 0xfff00000
	s_and_saveexec_b64 s[38:39], vcc
	s_cbranch_execz .LBB1_12
; %bb.9:                                ;   in Loop: Header=BB1_5 Depth=1
	v_mov_b32_e32 v21, 0
	v_mov_b32_e32 v22, 0xfff00000
	s_and_saveexec_b64 s[40:41], s[0:1]
	s_cbranch_execz .LBB1_11
; %bb.10:                               ;   in Loop: Header=BB1_5 Depth=1
	global_load_dword v21, v[9:10], off
	s_waitcnt vmcnt(0)
	v_ashrrev_i32_e32 v25, 31, v21
	v_mul_lo_u32 v26, s13, v21
	v_mad_u64_u32 v[21:22], s[42:43], s12, v21, 0
	v_mul_lo_u32 v25, s12, v25
	v_add3_u32 v22, v22, v25, v26
	v_lshlrev_b64 v[21:22], 3, v[21:22]
	v_add_co_u32_e32 v21, vcc, v23, v21
	v_addc_co_u32_e32 v22, vcc, v24, v22, vcc
	global_load_dwordx2 v[21:22], v[21:22], off
.LBB1_11:                               ;   in Loop: Header=BB1_5 Depth=1
	s_or_b64 exec, exec, s[40:41]
.LBB1_12:                               ;   in Loop: Header=BB1_5 Depth=1
	s_or_b64 exec, exec, s[38:39]
	s_andn2_saveexec_b64 s[2:3], s[2:3]
	s_cbranch_execz .LBB1_7
.LBB1_13:                               ;   in Loop: Header=BB1_5 Depth=1
	v_cmp_eq_u64_e32 vcc, 0, v[17:18]
	s_waitcnt vmcnt(0)
	v_mov_b32_e32 v21, 0
	v_mov_b32_e32 v22, 0xfff00000
	s_and_saveexec_b64 s[38:39], vcc
	s_cbranch_execz .LBB1_15
; %bb.14:                               ;   in Loop: Header=BB1_5 Depth=1
	global_load_dwordx2 v[21:22], v[13:14], off
.LBB1_15:                               ;   in Loop: Header=BB1_5 Depth=1
	s_or_b64 exec, exec, s[38:39]
	s_or_b64 exec, exec, s[2:3]
	v_cmp_ge_i64_e32 vcc, s[10:11], v[17:18]
	s_and_saveexec_b64 s[2:3], vcc
	s_cbranch_execz .LBB1_4
.LBB1_16:                               ;   in Loop: Header=BB1_5 Depth=1
	s_waitcnt vmcnt(0)
	global_store_dwordx2 v[15:16], v[21:22], off
	s_branch .LBB1_4
.LBB1_17:
	v_cmp_lt_i64_e64 s[0:1], 0, v[3:4]
	s_andn2_b64 vcc, exec, s[18:19]
	s_cbranch_vccnz .LBB1_45
; %bb.18:
	v_mad_u64_u32 v[13:14], s[2:3], s22, v0, 0
	s_load_dwordx2 s[14:15], s[4:5], 0x18
	s_lshl_b64 s[38:39], s[20:21], 3
	s_load_dword s4, s[36:37], 0xc
	v_mad_u64_u32 v[14:15], s[2:3], s23, v0, v[14:15]
	v_mov_b32_e32 v16, s7
	v_add_co_u32_e32 v43, vcc, s6, v11
	s_waitcnt lgkmcnt(0)
	s_and_b32 s33, s4, 0xffff
	v_lshlrev_b64 v[13:14], 3, v[13:14]
	s_add_u32 s2, s24, s38
	v_addc_co_u32_e32 v44, vcc, v16, v12, vcc
	s_addc_u32 s3, s25, s39
	v_mov_b32_e32 v12, s3
	v_add_co_u32_e32 v11, vcc, s2, v13
	v_addc_co_u32_e32 v12, vcc, v12, v14, vcc
	v_add_co_u32_e32 v15, vcc, -2, v0
	v_addc_co_u32_e64 v16, s[2:3], 0, -1, vcc
	v_mul_lo_u32 v18, s23, v15
	v_mul_lo_u32 v21, s22, v16
	v_mad_u64_u32 v[15:16], s[2:3], s22, v15, 0
	v_mov_b32_e32 v17, s25
	v_add_co_u32_e32 v13, vcc, s24, v13
	v_add3_u32 v16, v16, v21, v18
	v_lshlrev_b64 v[15:16], 3, v[15:16]
	v_addc_co_u32_e32 v14, vcc, v17, v14, vcc
	v_add_co_u32_e32 v15, vcc, s24, v15
	v_addc_co_u32_e32 v16, vcc, v17, v16, vcc
	v_add_co_u32_e32 v17, vcc, -1, v0
	v_addc_co_u32_e64 v18, s[2:3], 0, -1, vcc
	v_mul_lo_u32 v21, s23, v17
	v_mul_lo_u32 v22, s22, v18
	v_mad_u64_u32 v[17:18], s[2:3], s22, v17, 0
	s_mul_i32 s4, s23, s33
	s_mul_hi_u32 s5, s22, s33
	v_add3_u32 v18, v18, v22, v21
	s_add_i32 s3, s5, s4
	s_mul_i32 s2, s22, s33
	v_lshlrev_b64 v[17:18], 3, v[17:18]
	s_lshl_b64 s[40:41], s[2:3], 3
	s_lshl_b64 s[8:9], s[8:9], 3
	v_mov_b32_e32 v21, s25
	v_add_co_u32_e32 v17, vcc, s24, v17
	s_add_u32 s2, s26, s8
	v_addc_co_u32_e32 v18, vcc, v21, v18, vcc
	s_addc_u32 s3, s27, s9
	v_lshlrev_b64 v[9:10], 1, v[3:4]
	v_cmp_gt_i64_e64 s[36:37], s[14:15], 1
	v_mov_b32_e32 v21, s3
	v_add_co_u32_e32 v19, vcc, s2, v19
	s_mov_b32 s26, 0x652b82fe
	s_mov_b32 s42, 0xfefa39ef
	;; [unrolled: 1-line block ×21, first 2 shown]
	s_mov_b64 s[34:35], 0
	v_addc_co_u32_e32 v20, vcc, v21, v20, vcc
	s_lshl_b64 s[12:13], s[12:13], 3
	s_mov_b32 s27, 0x3ff71547
	s_mov_b32 s43, 0xbfe62e42
	;; [unrolled: 1-line block ×18, first 2 shown]
	v_mov_b32_e32 v45, 0x7ff00000
	v_mov_b32_e32 v21, 0x6b47b09a
	;; [unrolled: 1-line block ×3, first 2 shown]
	s_mov_b32 s77, 0x3fd99999
	v_mov_b32_e32 v47, 0xfff00000
	v_mov_b32_e32 v22, 0x3fc38538
	s_mov_b32 s79, 0x40900000
	s_mov_b32 s81, 0xc090cc00
	;; [unrolled: 1-line block ×5, first 2 shown]
	s_branch .LBB1_20
.LBB1_19:                               ;   in Loop: Header=BB1_20 Depth=1
	v_mov_b32_e32 v25, s41
	v_add_co_u32_e32 v11, vcc, s40, v11
	v_addc_co_u32_e32 v12, vcc, v12, v25, vcc
	v_add_co_u32_e32 v13, vcc, s40, v13
	v_addc_co_u32_e32 v14, vcc, v14, v25, vcc
	s_add_u32 s34, s34, s33
	v_add_co_u32_e32 v15, vcc, s40, v15
	v_mov_b32_e32 v24, s11
	s_addc_u32 s35, s35, 0
	v_addc_co_u32_e32 v16, vcc, v16, v25, vcc
	v_mov_b32_e32 v23, s10
	v_cmp_gt_i64_e32 vcc, s[34:35], v[23:24]
	v_add_co_u32_e64 v17, s[2:3], s40, v17
	v_addc_co_u32_e64 v18, s[2:3], v18, v25, s[2:3]
	s_cbranch_vccnz .LBB1_45
.LBB1_20:                               ; =>This Loop Header: Depth=1
                                        ;     Child Loop BB1_31 Depth 2
	v_mov_b32_e32 v23, s35
	v_add_co_u32_e32 v25, vcc, s34, v0
	v_addc_co_u32_e32 v26, vcc, 0, v23, vcc
	v_cmp_le_i64_e64 s[4:5], v[25:26], v[9:10]
	v_mov_b32_e32 v27, s30
	s_and_b64 s[2:3], s[0:1], s[4:5]
	v_mov_b32_e32 v28, s31
	s_mov_b64 s[88:89], 0
	s_and_saveexec_b64 s[6:7], s[2:3]
	s_cbranch_execz .LBB1_28
; %bb.21:                               ;   in Loop: Header=BB1_20 Depth=1
	v_and_b32_e32 v23, 1, v25
	v_mov_b32_e32 v27, s30
	v_cmp_eq_u32_e32 vcc, 1, v23
	v_mov_b32_e32 v28, s31
	s_and_saveexec_b64 s[18:19], vcc
	s_cbranch_execz .LBB1_23
; %bb.22:                               ;   in Loop: Header=BB1_20 Depth=1
	v_alignbit_b32 v23, v26, v25, 1
	v_lshrrev_b32_e32 v28, 1, v26
	v_mul_lo_u32 v27, v23, s17
	v_mad_u64_u32 v[23:24], s[2:3], v23, s16, 0
	v_mul_lo_u32 v28, v28, s16
	v_add3_u32 v24, v24, v27, v28
	v_lshlrev_b64 v[23:24], 2, v[23:24]
	v_add_co_u32_e64 v23, s[2:3], v43, v23
	v_addc_co_u32_e64 v24, s[2:3], v44, v24, s[2:3]
	global_load_dword v27, v[23:24], off
	s_waitcnt vmcnt(0)
	v_ashrrev_i32_e32 v28, 31, v27
.LBB1_23:                               ;   in Loop: Header=BB1_20 Depth=1
	s_or_b64 exec, exec, s[18:19]
	v_cmp_lt_u64_e64 s[2:3], 1, v[25:26]
	s_and_saveexec_b64 s[18:19], s[2:3]
	s_cbranch_execz .LBB1_27
; %bb.24:                               ;   in Loop: Header=BB1_20 Depth=1
	v_mov_b32_e32 v23, s30
	v_mov_b32_e32 v24, s31
	s_and_saveexec_b64 s[2:3], vcc
	s_cbranch_execz .LBB1_26
; %bb.25:                               ;   in Loop: Header=BB1_20 Depth=1
	v_add_co_u32_e32 v23, vcc, -2, v25
	v_addc_co_u32_e32 v24, vcc, -1, v26, vcc
	v_lshrrev_b32_e32 v29, 31, v24
	v_add_co_u32_e32 v23, vcc, v23, v29
	v_addc_co_u32_e32 v24, vcc, 0, v24, vcc
	v_ashrrev_i64 v[23:24], 1, v[23:24]
	v_mul_lo_u32 v29, v24, s16
	v_mul_lo_u32 v30, v23, s17
	v_mad_u64_u32 v[23:24], s[28:29], v23, s16, 0
	v_add3_u32 v24, v24, v30, v29
	v_lshlrev_b64 v[23:24], 2, v[23:24]
	v_add_co_u32_e32 v23, vcc, v43, v23
	v_addc_co_u32_e32 v24, vcc, v44, v24, vcc
	global_load_dword v23, v[23:24], off
	s_waitcnt vmcnt(0)
	v_ashrrev_i32_e32 v24, 31, v23
.LBB1_26:                               ;   in Loop: Header=BB1_20 Depth=1
	s_or_b64 exec, exec, s[2:3]
	v_cmp_ne_u64_e32 vcc, v[23:24], v[27:28]
	s_and_b64 s[88:89], vcc, exec
.LBB1_27:                               ;   in Loop: Header=BB1_20 Depth=1
	s_or_b64 exec, exec, s[18:19]
	s_and_b64 s[88:89], s[88:89], exec
.LBB1_28:                               ;   in Loop: Header=BB1_20 Depth=1
	s_or_b64 exec, exec, s[6:7]
	s_andn2_b64 vcc, exec, s[36:37]
	s_cbranch_vccnz .LBB1_19
; %bb.29:                               ;   in Loop: Header=BB1_20 Depth=1
	v_mad_u64_u32 v[23:24], s[2:3], s12, v27, v[19:20]
	v_mul_lo_u32 v28, s12, v28
	v_mul_lo_u32 v27, s13, v27
	v_cmp_ge_i64_e32 vcc, s[10:11], v[25:26]
	v_cmp_ne_u64_e64 s[2:3], 0, v[25:26]
	v_mov_b32_e32 v26, v18
	v_add3_u32 v24, v27, v24, v28
	v_mov_b32_e32 v28, v16
	v_mov_b32_e32 v30, v14
	;; [unrolled: 1-line block ×3, first 2 shown]
	s_mov_b64 s[90:91], 1
	s_xor_b64 s[92:93], s[4:5], -1
	v_mov_b32_e32 v25, v17
	v_mov_b32_e32 v27, v15
	;; [unrolled: 1-line block ×4, first 2 shown]
	s_branch .LBB1_31
.LBB1_30:                               ;   in Loop: Header=BB1_31 Depth=2
	s_or_b64 exec, exec, s[6:7]
	v_mov_b32_e32 v33, s39
	v_add_co_u32_e64 v31, s[4:5], s38, v31
	v_addc_co_u32_e64 v32, s[4:5], v32, v33, s[4:5]
	v_add_co_u32_e64 v29, s[4:5], s38, v29
	v_addc_co_u32_e64 v30, s[4:5], v30, v33, s[4:5]
	v_add_co_u32_e64 v27, s[4:5], s38, v27
	v_addc_co_u32_e64 v28, s[4:5], v28, v33, s[4:5]
	v_add_co_u32_e64 v25, s[4:5], s38, v25
	s_add_u32 s90, s90, 1
	v_addc_co_u32_e64 v26, s[4:5], v26, v33, s[4:5]
	s_addc_u32 s91, s91, 0
	v_mov_b32_e32 v33, s9
	v_add_co_u32_e64 v23, s[4:5], s8, v23
	s_cmp_eq_u64 s[14:15], s[90:91]
	v_addc_co_u32_e64 v24, s[4:5], v24, v33, s[4:5]
	s_cbranch_scc1 .LBB1_19
.LBB1_31:                               ;   Parent Loop BB1_20 Depth=1
                                        ; =>  This Inner Loop Header: Depth=2
	v_cmp_ge_i64_e64 s[4:5], s[90:91], v[5:6]
	s_mov_b64 s[94:95], 0
	s_or_b64 s[4:5], s[92:93], s[4:5]
	s_waitcnt vmcnt(0)
	s_barrier
	s_and_saveexec_b64 s[6:7], s[4:5]
	s_xor_b64 s[4:5], exec, s[6:7]
; %bb.32:                               ;   in Loop: Header=BB1_31 Depth=2
	s_and_b64 s[94:95], vcc, exec
; %bb.33:                               ;   in Loop: Header=BB1_31 Depth=2
	s_or_saveexec_b64 s[18:19], s[4:5]
	v_mov_b32_e32 v33, 0
	v_mov_b32_e32 v34, 0xfff00000
	s_xor_b64 exec, exec, s[18:19]
	s_cbranch_execz .LBB1_43
; %bb.34:                               ;   in Loop: Header=BB1_31 Depth=2
	v_add_co_u32_e64 v33, s[4:5], v29, v7
	v_addc_co_u32_e64 v34, s[4:5], v30, v8, s[4:5]
	global_load_dwordx2 v[39:40], v[33:34], off
	v_mov_b32_e32 v35, 0
	v_mov_b32_e32 v37, 0
	;; [unrolled: 1-line block ×4, first 2 shown]
	s_waitcnt vmcnt(0)
	v_mov_b32_e32 v33, v39
	v_mov_b32_e32 v34, v40
	s_and_saveexec_b64 s[6:7], s[2:3]
	s_cbranch_execz .LBB1_38
; %bb.35:                               ;   in Loop: Header=BB1_31 Depth=2
	v_add_co_u32_e64 v33, s[4:5], v25, v7
	v_addc_co_u32_e64 v34, s[4:5], v26, v8, s[4:5]
	global_load_dwordx2 v[37:38], v[33:34], off
	v_mov_b32_e32 v33, v39
	v_mov_b32_e32 v34, v40
	s_waitcnt vmcnt(0)
	v_cmp_gt_f64_e64 s[4:5], v[37:38], v[39:40]
	s_and_saveexec_b64 s[28:29], s[4:5]
; %bb.36:                               ;   in Loop: Header=BB1_31 Depth=2
	v_mov_b32_e32 v33, v37
	v_mov_b32_e32 v34, v38
; %bb.37:                               ;   in Loop: Header=BB1_31 Depth=2
	s_or_b64 exec, exec, s[28:29]
.LBB1_38:                               ;   in Loop: Header=BB1_31 Depth=2
	s_or_b64 exec, exec, s[6:7]
	s_and_saveexec_b64 s[6:7], s[88:89]
	s_cbranch_execz .LBB1_42
; %bb.39:                               ;   in Loop: Header=BB1_31 Depth=2
	v_add_co_u32_e64 v35, s[4:5], v27, v7
	v_addc_co_u32_e64 v36, s[4:5], v28, v8, s[4:5]
	global_load_dwordx2 v[35:36], v[35:36], off
	s_waitcnt vmcnt(0)
	v_cmp_gt_f64_e64 s[4:5], v[35:36], v[33:34]
	s_and_saveexec_b64 s[28:29], s[4:5]
; %bb.40:                               ;   in Loop: Header=BB1_31 Depth=2
	v_mov_b32_e32 v33, v35
	v_mov_b32_e32 v34, v36
; %bb.41:                               ;   in Loop: Header=BB1_31 Depth=2
	s_or_b64 exec, exec, s[28:29]
.LBB1_42:                               ;   in Loop: Header=BB1_31 Depth=2
	s_or_b64 exec, exec, s[6:7]
	s_mov_b32 s4, 0
	s_mov_b32 s5, 0xfff00000
	v_cmp_neq_f64_e64 s[4:5], s[4:5], v[33:34]
	s_mov_b32 s83, s67
	s_mov_b32 s84, s42
	s_mov_b32 s86, s44
	s_or_b64 s[94:95], s[94:95], exec
	v_cndmask_b32_e64 v34, 0, v34, s[4:5]
	v_cndmask_b32_e64 v33, 0, v33, s[4:5]
	v_add_f64 v[41:42], v[39:40], -v[33:34]
	v_add_f64 v[37:38], v[37:38], -v[33:34]
	;; [unrolled: 1-line block ×3, first 2 shown]
	v_mul_f64 v[39:40], v[41:42], s[26:27]
	v_cmp_nlt_f64_e64 s[4:5], s[78:79], v[41:42]
	v_cmp_ngt_f64_e64 s[6:7], s[80:81], v[41:42]
	v_rndne_f64_e32 v[48:49], v[39:40]
	v_fma_f64 v[39:40], v[48:49], s[42:43], v[41:42]
	v_fma_f64 v[50:51], v[48:49], s[44:45], v[39:40]
	v_mov_b32_e32 v39, s46
	v_mov_b32_e32 v40, s47
	v_cvt_i32_f64_e32 v48, v[48:49]
	v_fma_f64 v[52:53], v[50:51], s[48:49], v[39:40]
	v_fma_f64 v[52:53], v[50:51], v[52:53], s[50:51]
	;; [unrolled: 1-line block ×9, first 2 shown]
	v_fma_f64 v[52:53], v[50:51], v[52:53], 1.0
	v_fma_f64 v[50:51], v[50:51], v[52:53], 1.0
	v_ldexp_f64 v[48:49], v[50:51], v48
	v_cndmask_b32_e64 v49, v45, v49, s[4:5]
	s_and_b64 s[4:5], s[6:7], s[4:5]
	v_cndmask_b32_e64 v41, 0, v48, s[4:5]
	v_cndmask_b32_e64 v42, 0, v49, s[6:7]
	v_mul_f64 v[48:49], v[37:38], s[26:27]
	v_cmp_nlt_f64_e64 s[4:5], s[78:79], v[37:38]
	v_cmp_ngt_f64_e64 s[6:7], s[80:81], v[37:38]
	v_rndne_f64_e32 v[48:49], v[48:49]
	v_fma_f64 v[50:51], v[48:49], s[42:43], v[37:38]
	v_fma_f64 v[50:51], v[48:49], s[44:45], v[50:51]
	v_cvt_i32_f64_e32 v48, v[48:49]
	v_fma_f64 v[52:53], v[50:51], s[48:49], v[39:40]
	v_fma_f64 v[52:53], v[50:51], v[52:53], s[50:51]
	;; [unrolled: 1-line block ×9, first 2 shown]
	v_fma_f64 v[52:53], v[50:51], v[52:53], 1.0
	v_fma_f64 v[50:51], v[50:51], v[52:53], 1.0
	v_ldexp_f64 v[48:49], v[50:51], v48
	v_cndmask_b32_e64 v49, v45, v49, s[4:5]
	s_and_b64 s[4:5], s[6:7], s[4:5]
	v_cndmask_b32_e64 v37, 0, v48, s[4:5]
	v_cndmask_b32_e64 v38, 0, v49, s[6:7]
	v_add_f64 v[37:38], v[41:42], v[37:38]
	v_mul_f64 v[41:42], v[35:36], s[26:27]
	v_cmp_nlt_f64_e64 s[4:5], s[78:79], v[35:36]
	v_cmp_ngt_f64_e64 s[6:7], s[80:81], v[35:36]
	v_rndne_f64_e32 v[41:42], v[41:42]
	v_fma_f64 v[48:49], v[41:42], s[42:43], v[35:36]
	v_fma_f64 v[48:49], v[41:42], s[44:45], v[48:49]
	v_cvt_i32_f64_e32 v41, v[41:42]
	v_fma_f64 v[39:40], v[48:49], s[48:49], v[39:40]
	v_fma_f64 v[39:40], v[48:49], v[39:40], s[50:51]
	;; [unrolled: 1-line block ×9, first 2 shown]
	v_fma_f64 v[39:40], v[48:49], v[39:40], 1.0
	v_fma_f64 v[39:40], v[48:49], v[39:40], 1.0
	v_ldexp_f64 v[39:40], v[39:40], v41
	v_cndmask_b32_e64 v40, v45, v40, s[4:5]
	s_and_b64 s[4:5], s[6:7], s[4:5]
	v_cndmask_b32_e64 v35, 0, v39, s[4:5]
	v_cndmask_b32_e64 v36, 0, v40, s[6:7]
	v_add_f64 v[35:36], v[35:36], v[37:38]
	v_frexp_mant_f64_e32 v[37:38], v[35:36]
	v_frexp_exp_i32_f64_e32 v40, v[35:36]
	v_cmp_gt_f64_e64 s[4:5], s[66:67], v[37:38]
	v_cndmask_b32_e64 v39, 0, 1, s[4:5]
	v_ldexp_f64 v[38:39], v[37:38], v39
	v_subbrev_co_u32_e64 v37, s[4:5], 0, v40, s[4:5]
	s_movk_i32 s4, 0x204
	v_cmp_class_f64_e64 s[4:5], v[35:36], s4
	v_add_f64 v[48:49], v[38:39], 1.0
	v_add_f64 v[40:41], v[38:39], -1.0
	v_add_f64 v[50:51], v[48:49], -1.0
	v_add_f64 v[38:39], v[38:39], -v[50:51]
	v_rcp_f64_e32 v[50:51], v[48:49]
	v_fma_f64 v[52:53], -v[48:49], v[50:51], 1.0
	v_fma_f64 v[50:51], v[52:53], v[50:51], v[50:51]
	v_fma_f64 v[52:53], -v[48:49], v[50:51], 1.0
	v_fma_f64 v[50:51], v[52:53], v[50:51], v[50:51]
	v_mul_f64 v[52:53], v[40:41], v[50:51]
	v_mul_f64 v[54:55], v[48:49], v[52:53]
	v_fma_f64 v[48:49], v[52:53], v[48:49], -v[54:55]
	v_fma_f64 v[38:39], v[52:53], v[38:39], v[48:49]
	v_add_f64 v[48:49], v[54:55], v[38:39]
	v_add_f64 v[56:57], v[40:41], -v[48:49]
	v_add_f64 v[54:55], v[48:49], -v[54:55]
	;; [unrolled: 1-line block ×5, first 2 shown]
	v_add_f64 v[38:39], v[38:39], v[40:41]
	v_add_f64 v[38:39], v[56:57], v[38:39]
	v_mul_f64 v[38:39], v[50:51], v[38:39]
	v_add_f64 v[40:41], v[52:53], v[38:39]
	v_add_f64 v[48:49], v[40:41], -v[52:53]
	v_ldexp_f64 v[52:53], v[40:41], 1
	v_add_f64 v[38:39], v[38:39], -v[48:49]
	v_mul_f64 v[48:49], v[40:41], v[40:41]
	v_ldexp_f64 v[38:39], v[38:39], 1
	v_fma_f64 v[50:51], v[48:49], s[68:69], v[21:22]
	v_mul_f64 v[40:41], v[40:41], v[48:49]
	v_fma_f64 v[50:51], v[48:49], v[50:51], s[70:71]
	v_fma_f64 v[50:51], v[48:49], v[50:51], s[72:73]
	;; [unrolled: 1-line block ×5, first 2 shown]
	v_mul_f64 v[40:41], v[40:41], v[50:51]
	v_add_f64 v[48:49], v[52:53], v[40:41]
	v_add_f64 v[50:51], v[48:49], -v[52:53]
	v_add_f64 v[40:41], v[40:41], -v[50:51]
	v_add_f64 v[38:39], v[38:39], v[40:41]
	v_add_f64 v[40:41], v[48:49], v[38:39]
	v_add_f64 v[48:49], v[40:41], -v[48:49]
	v_add_f64 v[38:39], v[38:39], -v[48:49]
	v_cvt_f64_i32_e32 v[48:49], v37
	v_mul_f64 v[50:51], v[48:49], s[84:85]
	v_fma_f64 v[52:53], v[48:49], s[84:85], -v[50:51]
	v_fma_f64 v[48:49], v[48:49], s[86:87], v[52:53]
	v_add_f64 v[52:53], v[50:51], v[48:49]
	v_add_f64 v[50:51], v[52:53], -v[50:51]
	v_add_f64 v[48:49], v[48:49], -v[50:51]
	v_add_f64 v[50:51], v[52:53], v[40:41]
	v_add_f64 v[54:55], v[50:51], -v[52:53]
	v_add_f64 v[56:57], v[50:51], -v[54:55]
	;; [unrolled: 1-line block ×4, first 2 shown]
	v_add_f64 v[40:41], v[40:41], v[52:53]
	v_add_f64 v[52:53], v[48:49], v[38:39]
	v_add_f64 v[54:55], v[52:53], -v[48:49]
	v_add_f64 v[56:57], v[52:53], -v[54:55]
	;; [unrolled: 1-line block ×3, first 2 shown]
	v_add_f64 v[39:40], v[52:53], v[40:41]
	v_add_f64 v[48:49], v[48:49], -v[56:57]
	v_add_f64 v[41:42], v[50:51], v[39:40]
	v_add_f64 v[37:38], v[37:38], v[48:49]
	v_add_f64 v[48:49], v[41:42], -v[50:51]
	v_add_f64 v[39:40], v[39:40], -v[48:49]
	v_add_f64 v[37:38], v[37:38], v[39:40]
	v_add_f64 v[37:38], v[41:42], v[37:38]
	v_cndmask_b32_e64 v37, v37, v35, s[4:5]
	v_cndmask_b32_e64 v38, v38, v36, s[4:5]
	v_cmp_ngt_f64_e64 s[4:5], 0, v[35:36]
	v_cndmask_b32_e64 v38, v46, v38, s[4:5]
	v_cmp_nge_f64_e64 s[4:5], 0, v[35:36]
	v_cndmask_b32_e64 v37, 0, v37, s[4:5]
	v_cmp_neq_f64_e64 s[4:5], 0, v[35:36]
	global_load_dwordx2 v[35:36], v[23:24], off
	v_cndmask_b32_e64 v38, v47, v38, s[4:5]
	v_add_f64 v[33:34], v[33:34], v[37:38]
	s_waitcnt vmcnt(0)
	v_add_f64 v[33:34], v[35:36], v[33:34]
.LBB1_43:                               ;   in Loop: Header=BB1_31 Depth=2
	s_or_b64 exec, exec, s[18:19]
	s_and_saveexec_b64 s[6:7], s[94:95]
	s_cbranch_execz .LBB1_30
; %bb.44:                               ;   in Loop: Header=BB1_31 Depth=2
	v_add_co_u32_e64 v35, s[4:5], v31, v7
	v_addc_co_u32_e64 v36, s[4:5], v32, v8, s[4:5]
	global_store_dwordx2 v[35:36], v[33:34], off
	s_branch .LBB1_30
.LBB1_45:
	v_cmp_eq_u32_e32 vcc, 0, v0
	s_waitcnt vmcnt(0)
	s_barrier
	s_and_saveexec_b64 s[6:7], vcc
	v_readlane_b32 s12, v58, 2
	v_readlane_b32 s14, v58, 0
	;; [unrolled: 1-line block ×4, first 2 shown]
	s_cbranch_execz .LBB1_49
; %bb.46:
	v_add_co_u32_e32 v0, vcc, -1, v5
	v_addc_co_u32_e32 v5, vcc, -1, v6, vcc
	v_mul_lo_u32 v11, v5, s20
	v_mul_lo_u32 v12, v0, s21
	v_mad_u64_u32 v[5:6], s[0:1], v0, s20, 0
	v_mul_lo_u32 v0, v4, s22
	v_mul_lo_u32 v13, v3, s23
	v_mad_u64_u32 v[9:10], s[0:1], v3, s22, 0
	v_add3_u32 v6, v6, v12, v11
	v_add_co_u32_e32 v7, vcc, s24, v7
	v_add3_u32 v10, v10, v13, v0
	v_mov_b32_e32 v0, s25
	v_lshlrev_b64 v[5:6], 3, v[5:6]
	v_addc_co_u32_e32 v8, vcc, v0, v8, vcc
	v_add_co_u32_e32 v0, vcc, v7, v5
	v_addc_co_u32_e32 v11, vcc, v8, v6, vcc
	v_lshlrev_b64 v[5:6], 4, v[9:10]
	v_mov_b32_e32 v7, 0
	v_add_co_u32_e32 v5, vcc, v0, v5
	v_addc_co_u32_e32 v6, vcc, v11, v6, vcc
	global_load_dwordx2 v[5:6], v[5:6], off
	v_cmp_lt_i64_e32 vcc, 0, v[3:4]
	v_mov_b32_e32 v8, 0xfff00000
	s_and_saveexec_b64 s[0:1], vcc
	s_cbranch_execz .LBB1_48
; %bb.47:
	v_lshlrev_b64 v[3:4], 1, v[9:10]
	v_mov_b32_e32 v7, s23
	v_subrev_co_u32_e32 v3, vcc, s22, v3
	v_subb_co_u32_e32 v4, vcc, v4, v7, vcc
	v_lshlrev_b64 v[3:4], 3, v[3:4]
	v_add_co_u32_e32 v3, vcc, v0, v3
	v_addc_co_u32_e32 v4, vcc, v11, v4, vcc
	global_load_dwordx2 v[7:8], v[3:4], off
.LBB1_48:
	s_or_b64 exec, exec, s[0:1]
	s_waitcnt vmcnt(0)
	v_cmp_gt_f64_e32 vcc, v[5:6], v[7:8]
	s_mov_b32 s0, 0
	s_mov_b32 s1, 0xfff00000
	;; [unrolled: 1-line block ×7, first 2 shown]
	v_cndmask_b32_e32 v4, v8, v6, vcc
	v_cndmask_b32_e32 v3, v7, v5, vcc
	v_cmp_neq_f64_e32 vcc, s[0:1], v[3:4]
	s_mov_b32 s0, 0x652b82fe
	s_mov_b32 s1, 0x3ff71547
	;; [unrolled: 1-line block ×5, first 2 shown]
	v_cndmask_b32_e32 v4, 0, v4, vcc
	v_cndmask_b32_e32 v3, 0, v3, vcc
	v_add_f64 v[5:6], v[5:6], -v[3:4]
	v_add_f64 v[7:8], v[7:8], -v[3:4]
	v_mul_f64 v[9:10], v[5:6], s[0:1]
	v_mul_f64 v[11:12], v[7:8], s[0:1]
	s_mov_b32 s0, 0xfca7ab0c
	s_mov_b32 s1, 0x3e928af3
	v_mov_b32_e32 v18, s1
	v_mov_b32_e32 v17, s0
	s_mov_b32 s0, 0x623fde64
	s_mov_b32 s1, 0x3ec71dee
	v_rndne_f64_e32 v[9:10], v[9:10]
	v_rndne_f64_e32 v[11:12], v[11:12]
	v_fma_f64 v[13:14], v[9:10], s[10:11], v[5:6]
	v_fma_f64 v[15:16], v[11:12], s[10:11], v[7:8]
	v_cvt_i32_f64_e32 v0, v[9:10]
	s_mov_b32 s11, 0x3fe62e42
	v_fma_f64 v[13:14], v[9:10], s[8:9], v[13:14]
	v_fma_f64 v[15:16], v[11:12], s[8:9], v[15:16]
	v_cvt_i32_f64_e32 v11, v[11:12]
	s_mov_b32 s9, 0x3c7abc9e
	v_fma_f64 v[19:20], v[13:14], s[2:3], v[17:18]
	v_fma_f64 v[17:18], v[15:16], s[2:3], v[17:18]
	s_mov_b32 s2, 0
	s_mov_b32 s3, 0x40900000
	v_cmp_nlt_f64_e32 vcc, s[2:3], v[5:6]
	v_cmp_nlt_f64_e64 s[2:3], s[2:3], v[7:8]
	v_fma_f64 v[19:20], v[13:14], v[19:20], s[0:1]
	v_fma_f64 v[17:18], v[15:16], v[17:18], s[0:1]
	s_mov_b32 s0, 0x7c89e6b0
	s_mov_b32 s1, 0x3efa0199
	v_fma_f64 v[19:20], v[13:14], v[19:20], s[0:1]
	v_fma_f64 v[17:18], v[15:16], v[17:18], s[0:1]
	s_mov_b32 s0, 0x14761f6e
	s_mov_b32 s1, 0x3f2a01a0
	;; [unrolled: 4-line block ×7, first 2 shown]
	v_fma_f64 v[19:20], v[13:14], v[19:20], s[0:1]
	v_fma_f64 v[17:18], v[15:16], v[17:18], s[0:1]
	v_cmp_ngt_f64_e64 s[0:1], s[4:5], v[5:6]
	v_cmp_ngt_f64_e64 s[4:5], s[4:5], v[7:8]
	v_fma_f64 v[19:20], v[13:14], v[19:20], 1.0
	v_fma_f64 v[17:18], v[15:16], v[17:18], 1.0
	;; [unrolled: 1-line block ×4, first 2 shown]
	v_ldexp_f64 v[9:10], v[13:14], v0
	v_ldexp_f64 v[11:12], v[15:16], v11
	v_mov_b32_e32 v0, 0x7ff00000
	v_cndmask_b32_e32 v10, v0, v10, vcc
	s_and_b64 vcc, s[0:1], vcc
	v_cndmask_b32_e64 v0, v0, v12, s[2:3]
	v_cndmask_b32_e32 v5, 0, v9, vcc
	s_and_b64 vcc, s[4:5], s[2:3]
	v_cndmask_b32_e64 v6, 0, v10, s[0:1]
	v_cndmask_b32_e64 v8, 0, v0, s[4:5]
	v_cndmask_b32_e32 v7, 0, v11, vcc
	v_add_f64 v[5:6], v[5:6], v[7:8]
	s_mov_b32 s1, 0x3fe55555
	s_mov_b32 s0, 0x55555555
	;; [unrolled: 1-line block ×4, first 2 shown]
	v_frexp_mant_f64_e32 v[7:8], v[5:6]
	v_cmp_gt_f64_e32 vcc, s[0:1], v[7:8]
	s_mov_b32 s0, 0x55555780
	v_cndmask_b32_e64 v0, 0, 1, vcc
	v_ldexp_f64 v[7:8], v[7:8], v0
	v_frexp_exp_i32_f64_e32 v0, v[5:6]
	v_add_f64 v[9:10], v[7:8], 1.0
	v_add_f64 v[15:16], v[7:8], -1.0
	v_subbrev_co_u32_e32 v0, vcc, 0, v0, vcc
	v_rcp_f64_e32 v[11:12], v[9:10]
	v_add_f64 v[17:18], v[9:10], -1.0
	v_add_f64 v[7:8], v[7:8], -v[17:18]
	v_fma_f64 v[13:14], -v[9:10], v[11:12], 1.0
	v_fma_f64 v[11:12], v[13:14], v[11:12], v[11:12]
	v_fma_f64 v[13:14], -v[9:10], v[11:12], 1.0
	v_fma_f64 v[11:12], v[13:14], v[11:12], v[11:12]
	v_mul_f64 v[13:14], v[15:16], v[11:12]
	v_mul_f64 v[19:20], v[9:10], v[13:14]
	v_fma_f64 v[9:10], v[13:14], v[9:10], -v[19:20]
	v_fma_f64 v[7:8], v[13:14], v[7:8], v[9:10]
	v_add_f64 v[9:10], v[19:20], v[7:8]
	v_add_f64 v[17:18], v[15:16], -v[9:10]
	v_add_f64 v[19:20], v[9:10], -v[19:20]
	;; [unrolled: 1-line block ×5, first 2 shown]
	v_mov_b32_e32 v15, 0x6b47b09a
	v_mov_b32_e32 v16, 0x3fc38538
	v_add_f64 v[7:8], v[7:8], v[9:10]
	v_add_f64 v[7:8], v[17:18], v[7:8]
	v_mul_f64 v[7:8], v[11:12], v[7:8]
	v_add_f64 v[9:10], v[13:14], v[7:8]
	v_mul_f64 v[11:12], v[9:10], v[9:10]
	v_fma_f64 v[15:16], v[11:12], s[2:3], v[15:16]
	s_mov_b32 s2, 0xd7f4df2e
	s_mov_b32 s3, 0x3fc7474d
	v_mul_f64 v[17:18], v[9:10], v[11:12]
	v_fma_f64 v[15:16], v[11:12], v[15:16], s[2:3]
	s_mov_b32 s2, 0x16291751
	s_mov_b32 s3, 0x3fcc71c0
	v_fma_f64 v[15:16], v[11:12], v[15:16], s[2:3]
	s_mov_b32 s2, 0x9b27acf1
	s_mov_b32 s3, 0x3fd24924
	;; [unrolled: 3-line block ×3, first 2 shown]
	v_fma_f64 v[15:16], v[11:12], v[15:16], s[2:3]
	v_fma_f64 v[11:12], v[11:12], v[15:16], s[0:1]
	v_ldexp_f64 v[15:16], v[9:10], 1
	v_add_f64 v[9:10], v[9:10], -v[13:14]
	s_movk_i32 s0, 0x204
	v_cmp_class_f64_e64 vcc, v[5:6], s0
	v_mul_f64 v[11:12], v[17:18], v[11:12]
	v_cvt_f64_i32_e32 v[17:18], v0
	v_add_f64 v[7:8], v[7:8], -v[9:10]
	v_mov_b32_e32 v0, 0x7ff80000
	v_mul_f64 v[19:20], v[17:18], s[10:11]
	v_add_f64 v[13:14], v[15:16], v[11:12]
	v_ldexp_f64 v[7:8], v[7:8], 1
	v_add_f64 v[9:10], v[13:14], -v[15:16]
	v_fma_f64 v[15:16], v[17:18], s[10:11], -v[19:20]
	v_add_f64 v[9:10], v[11:12], -v[9:10]
	v_fma_f64 v[11:12], v[17:18], s[8:9], v[15:16]
	v_add_f64 v[7:8], v[7:8], v[9:10]
	v_add_f64 v[9:10], v[19:20], v[11:12]
	;; [unrolled: 1-line block ×3, first 2 shown]
	v_add_f64 v[19:20], v[9:10], -v[19:20]
	v_add_f64 v[17:18], v[9:10], v[15:16]
	v_add_f64 v[13:14], v[15:16], -v[13:14]
	v_add_f64 v[11:12], v[11:12], -v[19:20]
	;; [unrolled: 1-line block ×6, first 2 shown]
	v_add_f64 v[15:16], v[11:12], v[7:8]
	v_add_f64 v[9:10], v[9:10], -v[23:24]
	v_add_f64 v[9:10], v[13:14], v[9:10]
	v_add_f64 v[13:14], v[15:16], -v[11:12]
	v_add_f64 v[9:10], v[15:16], v[9:10]
	v_add_f64 v[15:16], v[15:16], -v[13:14]
	v_add_f64 v[7:8], v[7:8], -v[13:14]
	v_add_f64 v[19:20], v[17:18], v[9:10]
	v_add_f64 v[11:12], v[11:12], -v[15:16]
	v_add_f64 v[13:14], v[19:20], -v[17:18]
	v_add_f64 v[7:8], v[7:8], v[11:12]
	v_add_f64 v[9:10], v[9:10], -v[13:14]
	v_add_f64 v[7:8], v[7:8], v[9:10]
	v_mov_b32_e32 v9, 0xfff00000
	v_add_f64 v[7:8], v[19:20], v[7:8]
	v_cndmask_b32_e32 v7, v7, v5, vcc
	v_cndmask_b32_e32 v8, v8, v6, vcc
	v_cmp_ngt_f64_e32 vcc, 0, v[5:6]
	v_cndmask_b32_e32 v0, v0, v8, vcc
	v_cmp_nge_f64_e32 vcc, 0, v[5:6]
	v_cndmask_b32_e32 v7, 0, v7, vcc
	v_cmp_neq_f64_e32 vcc, 0, v[5:6]
	v_mov_b32_e32 v5, s13
	v_cndmask_b32_e32 v8, v9, v0, vcc
	v_add_f64 v[3:4], v[3:4], v[7:8]
	v_add_co_u32_e32 v0, vcc, s12, v1
	v_addc_co_u32_e32 v1, vcc, v5, v2, vcc
	v_xor_b32_e32 v4, 0x80000000, v4
	global_store_dwordx2 v[0:1], v[3:4], off
.LBB1_49:
	s_or_b64 exec, exec, s[6:7]
                                        ; implicit-def: $vgpr0
                                        ; implicit-def: $vgpr1_vgpr2
                                        ; implicit-def: $vgpr3_vgpr4
.LBB1_50:
	s_andn2_saveexec_b64 s[0:1], s[14:15]
	s_cbranch_execz .LBB1_53
; %bb.51:
	v_cmp_eq_u32_e32 vcc, 0, v0
	s_and_b64 exec, exec, vcc
	s_cbranch_execz .LBB1_53
; %bb.52:
	v_mov_b32_e32 v5, s13
	v_add_co_u32_e32 v0, vcc, s12, v1
	v_addc_co_u32_e32 v1, vcc, v5, v2, vcc
	s_waitcnt vmcnt(0)
	v_cmp_eq_u64_e32 vcc, 0, v[3:4]
	v_mov_b32_e32 v2, 0x7ff00000
	v_bfrev_b32_e32 v5, 1
	v_cndmask_b32_e32 v3, v2, v5, vcc
	v_mov_b32_e32 v2, 0
	global_store_dwordx2 v[0:1], v[2:3], off
.LBB1_53:
	s_endpgm
	.section	.rodata,"a",@progbits
	.p2align	6, 0x0
	.amdhsa_kernel _ZN2at6native12_GLOBAL__N_129ctc_loss_log_alpha_gpu_kernelIdiEEvPT_PKS3_PKllPKT0_S8_lS4_llllllS8_lll
		.amdhsa_group_segment_fixed_size 0
		.amdhsa_private_segment_fixed_size 0
		.amdhsa_kernarg_size 400
		.amdhsa_user_sgpr_count 6
		.amdhsa_user_sgpr_private_segment_buffer 1
		.amdhsa_user_sgpr_dispatch_ptr 0
		.amdhsa_user_sgpr_queue_ptr 0
		.amdhsa_user_sgpr_kernarg_segment_ptr 1
		.amdhsa_user_sgpr_dispatch_id 0
		.amdhsa_user_sgpr_flat_scratch_init 0
		.amdhsa_user_sgpr_private_segment_size 0
		.amdhsa_uses_dynamic_stack 0
		.amdhsa_system_sgpr_private_segment_wavefront_offset 0
		.amdhsa_system_sgpr_workgroup_id_x 1
		.amdhsa_system_sgpr_workgroup_id_y 1
		.amdhsa_system_sgpr_workgroup_id_z 0
		.amdhsa_system_sgpr_workgroup_info 0
		.amdhsa_system_vgpr_workitem_id 1
		.amdhsa_next_free_vgpr 59
		.amdhsa_next_free_sgpr 96
		.amdhsa_reserve_vcc 1
		.amdhsa_reserve_flat_scratch 0
		.amdhsa_float_round_mode_32 0
		.amdhsa_float_round_mode_16_64 0
		.amdhsa_float_denorm_mode_32 3
		.amdhsa_float_denorm_mode_16_64 3
		.amdhsa_dx10_clamp 1
		.amdhsa_ieee_mode 1
		.amdhsa_fp16_overflow 0
		.amdhsa_exception_fp_ieee_invalid_op 0
		.amdhsa_exception_fp_denorm_src 0
		.amdhsa_exception_fp_ieee_div_zero 0
		.amdhsa_exception_fp_ieee_overflow 0
		.amdhsa_exception_fp_ieee_underflow 0
		.amdhsa_exception_fp_ieee_inexact 0
		.amdhsa_exception_int_div_zero 0
	.end_amdhsa_kernel
	.section	.text._ZN2at6native12_GLOBAL__N_129ctc_loss_log_alpha_gpu_kernelIdiEEvPT_PKS3_PKllPKT0_S8_lS4_llllllS8_lll,"axG",@progbits,_ZN2at6native12_GLOBAL__N_129ctc_loss_log_alpha_gpu_kernelIdiEEvPT_PKS3_PKllPKT0_S8_lS4_llllllS8_lll,comdat
.Lfunc_end1:
	.size	_ZN2at6native12_GLOBAL__N_129ctc_loss_log_alpha_gpu_kernelIdiEEvPT_PKS3_PKllPKT0_S8_lS4_llllllS8_lll, .Lfunc_end1-_ZN2at6native12_GLOBAL__N_129ctc_loss_log_alpha_gpu_kernelIdiEEvPT_PKS3_PKllPKT0_S8_lS4_llllllS8_lll
                                        ; -- End function
	.set _ZN2at6native12_GLOBAL__N_129ctc_loss_log_alpha_gpu_kernelIdiEEvPT_PKS3_PKllPKT0_S8_lS4_llllllS8_lll.num_vgpr, 59
	.set _ZN2at6native12_GLOBAL__N_129ctc_loss_log_alpha_gpu_kernelIdiEEvPT_PKS3_PKllPKT0_S8_lS4_llllllS8_lll.num_agpr, 0
	.set _ZN2at6native12_GLOBAL__N_129ctc_loss_log_alpha_gpu_kernelIdiEEvPT_PKS3_PKllPKT0_S8_lS4_llllllS8_lll.numbered_sgpr, 96
	.set _ZN2at6native12_GLOBAL__N_129ctc_loss_log_alpha_gpu_kernelIdiEEvPT_PKS3_PKllPKT0_S8_lS4_llllllS8_lll.num_named_barrier, 0
	.set _ZN2at6native12_GLOBAL__N_129ctc_loss_log_alpha_gpu_kernelIdiEEvPT_PKS3_PKllPKT0_S8_lS4_llllllS8_lll.private_seg_size, 0
	.set _ZN2at6native12_GLOBAL__N_129ctc_loss_log_alpha_gpu_kernelIdiEEvPT_PKS3_PKllPKT0_S8_lS4_llllllS8_lll.uses_vcc, 1
	.set _ZN2at6native12_GLOBAL__N_129ctc_loss_log_alpha_gpu_kernelIdiEEvPT_PKS3_PKllPKT0_S8_lS4_llllllS8_lll.uses_flat_scratch, 0
	.set _ZN2at6native12_GLOBAL__N_129ctc_loss_log_alpha_gpu_kernelIdiEEvPT_PKS3_PKllPKT0_S8_lS4_llllllS8_lll.has_dyn_sized_stack, 0
	.set _ZN2at6native12_GLOBAL__N_129ctc_loss_log_alpha_gpu_kernelIdiEEvPT_PKS3_PKllPKT0_S8_lS4_llllllS8_lll.has_recursion, 0
	.set _ZN2at6native12_GLOBAL__N_129ctc_loss_log_alpha_gpu_kernelIdiEEvPT_PKS3_PKllPKT0_S8_lS4_llllllS8_lll.has_indirect_call, 0
	.section	.AMDGPU.csdata,"",@progbits
; Kernel info:
; codeLenInByte = 5476
; TotalNumSgprs: 100
; NumVgprs: 59
; ScratchSize: 0
; MemoryBound: 0
; FloatMode: 240
; IeeeMode: 1
; LDSByteSize: 0 bytes/workgroup (compile time only)
; SGPRBlocks: 12
; VGPRBlocks: 14
; NumSGPRsForWavesPerEU: 100
; NumVGPRsForWavesPerEU: 59
; Occupancy: 4
; WaveLimiterHint : 1
; COMPUTE_PGM_RSRC2:SCRATCH_EN: 0
; COMPUTE_PGM_RSRC2:USER_SGPR: 6
; COMPUTE_PGM_RSRC2:TRAP_HANDLER: 0
; COMPUTE_PGM_RSRC2:TGID_X_EN: 1
; COMPUTE_PGM_RSRC2:TGID_Y_EN: 1
; COMPUTE_PGM_RSRC2:TGID_Z_EN: 0
; COMPUTE_PGM_RSRC2:TIDIG_COMP_CNT: 1
	.section	.text._ZN2at6native12_GLOBAL__N_129ctc_loss_log_alpha_gpu_kernelIflEEvPT_PKS3_PKllPKT0_S8_lS4_llllllS8_lll,"axG",@progbits,_ZN2at6native12_GLOBAL__N_129ctc_loss_log_alpha_gpu_kernelIflEEvPT_PKS3_PKllPKT0_S8_lS4_llllllS8_lll,comdat
	.globl	_ZN2at6native12_GLOBAL__N_129ctc_loss_log_alpha_gpu_kernelIflEEvPT_PKS3_PKllPKT0_S8_lS4_llllllS8_lll ; -- Begin function _ZN2at6native12_GLOBAL__N_129ctc_loss_log_alpha_gpu_kernelIflEEvPT_PKS3_PKllPKT0_S8_lS4_llllllS8_lll
	.p2align	8
	.type	_ZN2at6native12_GLOBAL__N_129ctc_loss_log_alpha_gpu_kernelIflEEvPT_PKS3_PKllPKT0_S8_lS4_llllllS8_lll,@function
_ZN2at6native12_GLOBAL__N_129ctc_loss_log_alpha_gpu_kernelIflEEvPT_PKS3_PKllPKT0_S8_lS4_llllllS8_lll: ; @_ZN2at6native12_GLOBAL__N_129ctc_loss_log_alpha_gpu_kernelIflEEvPT_PKS3_PKllPKT0_S8_lS4_llllllS8_lll
; %bb.0:
	s_load_dword s0, s[4:5], 0x9c
	s_load_dwordx4 s[16:19], s[4:5], 0x78
	s_add_u32 s34, s4, 0x90
	s_addc_u32 s35, s5, 0
	v_mov_b32_e32 v2, 0
	s_waitcnt lgkmcnt(0)
	s_lshr_b32 s0, s0, 16
	s_mul_i32 s7, s7, s0
	v_add_u32_e32 v1, s7, v1
	v_cmp_gt_i64_e32 vcc, s[18:19], v[1:2]
	s_and_saveexec_b64 s[0:1], vcc
	s_cbranch_execz .LBB2_53
; %bb.1:
	s_load_dwordx2 s[0:1], s[4:5], 0x10
	s_load_dwordx2 s[2:3], s[4:5], 0x28
	;; [unrolled: 1-line block ×3, first 2 shown]
	v_lshlrev_b64 v[7:8], 3, v[1:2]
	s_waitcnt lgkmcnt(0)
	v_mov_b32_e32 v4, s1
	v_add_co_u32_e32 v3, vcc, s0, v7
	v_addc_co_u32_e32 v4, vcc, v4, v8, vcc
	global_load_dwordx2 v[5:6], v[3:4], off
	v_mov_b32_e32 v4, s3
	v_add_co_u32_e32 v3, vcc, s2, v7
	v_addc_co_u32_e32 v4, vcc, v4, v8, vcc
	global_load_dwordx2 v[3:4], v[3:4], off
	s_waitcnt vmcnt(1)
	v_cmp_ne_u64_e32 vcc, 0, v[5:6]
	s_and_saveexec_b64 s[0:1], vcc
	s_xor_b64 s[18:19], exec, s[0:1]
	s_cbranch_execz .LBB2_50
; %bb.2:
	s_load_dwordx2 s[0:1], s[4:5], 0x70
	s_load_dwordx4 s[20:23], s[4:5], 0x60
	s_load_dwordx2 s[28:29], s[4:5], 0x88
	s_waitcnt lgkmcnt(0)
	v_mov_b32_e32 v9, s1
	v_add_co_u32_e32 v7, vcc, s0, v7
	v_addc_co_u32_e32 v8, vcc, v9, v8, vcc
	global_load_dwordx2 v[9:10], v[7:8], off
	s_load_dwordx8 s[8:15], s[4:5], 0x40
	s_load_dwordx4 s[24:27], s[4:5], 0x0
	s_load_dwordx2 s[36:37], s[4:5], 0x20
	s_load_dwordx2 s[0:1], s[4:5], 0x30
	s_waitcnt lgkmcnt(0)
	v_mad_u64_u32 v[7:8], s[2:3], s10, v1, 0
	v_mad_u64_u32 v[11:12], s[2:3], s14, v1, 0
	v_cmp_gt_i64_e64 s[30:31], s[0:1], -1
	s_and_b64 vcc, exec, s[30:31]
	s_waitcnt vmcnt(0)
	v_mad_u64_u32 v[13:14], s[2:3], s11, v1, v[8:9]
	v_lshlrev_b64 v[9:10], 3, v[9:10]
	s_lshl_b64 s[10:11], s[0:1], 1
	v_mad_u64_u32 v[14:15], s[2:3], s15, v1, v[12:13]
	v_mov_b32_e32 v8, v13
	v_lshlrev_b64 v[17:18], 2, v[7:8]
	v_mov_b32_e32 v12, v14
	v_lshlrev_b64 v[7:8], 2, v[11:12]
	s_cbranch_vccz .LBB2_17
; %bb.3:
	s_mul_i32 s2, s28, s13
	s_mul_hi_u32 s3, s28, s12
	v_mad_u64_u32 v[15:16], s[38:39], s22, v0, 0
	v_mov_b32_e32 v12, s37
	v_add_co_u32_e32 v11, vcc, s36, v9
	s_add_i32 s2, s3, s2
	s_mul_i32 s3, s29, s12
	v_addc_co_u32_e32 v12, vcc, v12, v10, vcc
	s_add_i32 s3, s2, s3
	s_mul_i32 s2, s28, s12
	v_mov_b32_e32 v13, s27
	v_add_co_u32_e32 v21, vcc, s26, v17
	s_lshl_b64 s[2:3], s[2:3], 2
	v_addc_co_u32_e32 v22, vcc, v13, v18, vcc
	v_mov_b32_e32 v14, s3
	v_mov_b32_e32 v13, v16
	v_mad_u64_u32 v[19:20], s[38:39], s23, v0, v[13:14]
	s_load_dword s3, s[34:35], 0xc
	v_add_co_u32_e32 v13, vcc, s2, v21
	v_mov_b32_e32 v16, v19
	v_lshlrev_b64 v[15:16], 2, v[15:16]
	v_addc_co_u32_e32 v14, vcc, v22, v14, vcc
	s_waitcnt lgkmcnt(0)
	s_and_b32 s33, s3, 0xffff
	v_add_co_u32_e32 v15, vcc, v15, v7
	v_addc_co_u32_e32 v16, vcc, v16, v8, vcc
	s_mul_i32 s2, s23, s33
	s_mul_hi_u32 s3, s22, s33
	v_cmp_ne_u64_e64 s[0:1], 0, v[3:4]
	v_mov_b32_e32 v19, s25
	v_add_co_u32_e32 v15, vcc, s24, v15
	s_add_i32 s3, s3, s2
	s_mul_i32 s2, s22, s33
	s_mov_b64 s[14:15], 0
	v_addc_co_u32_e32 v16, vcc, v19, v16, vcc
	s_lshl_b64 s[38:39], s[2:3], 2
	s_branch .LBB2_5
.LBB2_4:                                ;   in Loop: Header=BB2_5 Depth=1
	s_or_b64 exec, exec, s[2:3]
	s_add_u32 s14, s14, s33
	v_mov_b32_e32 v20, s11
	s_addc_u32 s15, s15, 0
	v_mov_b32_e32 v19, s10
	v_cmp_gt_i64_e32 vcc, s[14:15], v[19:20]
	s_waitcnt vmcnt(0)
	v_mov_b32_e32 v23, s39
	v_add_co_u32_e64 v15, s[2:3], s38, v15
	v_addc_co_u32_e64 v16, s[2:3], v16, v23, s[2:3]
	s_cbranch_vccnz .LBB2_17
.LBB2_5:                                ; =>This Inner Loop Header: Depth=1
	v_mov_b32_e32 v20, s15
	v_add_co_u32_e32 v19, vcc, s14, v0
	v_addc_co_u32_e32 v20, vcc, 0, v20, vcc
	v_cmp_lt_i64_e32 vcc, 0, v[19:20]
                                        ; implicit-def: $vgpr23
	s_and_saveexec_b64 s[2:3], vcc
	s_xor_b64 s[2:3], exec, s[2:3]
	s_cbranch_execnz .LBB2_8
; %bb.6:                                ;   in Loop: Header=BB2_5 Depth=1
	s_andn2_saveexec_b64 s[2:3], s[2:3]
	s_cbranch_execnz .LBB2_13
.LBB2_7:                                ;   in Loop: Header=BB2_5 Depth=1
	s_or_b64 exec, exec, s[2:3]
	v_cmp_ge_i64_e32 vcc, s[10:11], v[19:20]
	s_and_saveexec_b64 s[2:3], vcc
	s_cbranch_execz .LBB2_4
	s_branch .LBB2_16
.LBB2_8:                                ;   in Loop: Header=BB2_5 Depth=1
	v_cmp_eq_u64_e32 vcc, 1, v[19:20]
	v_mov_b32_e32 v23, 0xff800000
	s_and_saveexec_b64 s[40:41], vcc
	s_cbranch_execz .LBB2_12
; %bb.9:                                ;   in Loop: Header=BB2_5 Depth=1
	v_mov_b32_e32 v23, 0xff800000
	s_and_saveexec_b64 s[42:43], s[0:1]
	s_cbranch_execz .LBB2_11
; %bb.10:                               ;   in Loop: Header=BB2_5 Depth=1
	global_load_dwordx2 v[23:24], v[11:12], off
	s_waitcnt vmcnt(0)
	v_mul_lo_u32 v25, v24, s12
	v_mul_lo_u32 v26, v23, s13
	v_mad_u64_u32 v[23:24], s[44:45], v23, s12, 0
	v_add3_u32 v24, v24, v26, v25
	v_lshlrev_b64 v[23:24], 2, v[23:24]
	v_add_co_u32_e32 v23, vcc, v21, v23
	v_addc_co_u32_e32 v24, vcc, v22, v24, vcc
	global_load_dword v23, v[23:24], off
.LBB2_11:                               ;   in Loop: Header=BB2_5 Depth=1
	s_or_b64 exec, exec, s[42:43]
.LBB2_12:                               ;   in Loop: Header=BB2_5 Depth=1
	s_or_b64 exec, exec, s[40:41]
	s_andn2_saveexec_b64 s[2:3], s[2:3]
	s_cbranch_execz .LBB2_7
.LBB2_13:                               ;   in Loop: Header=BB2_5 Depth=1
	v_cmp_eq_u64_e32 vcc, 0, v[19:20]
	s_waitcnt vmcnt(0)
	v_mov_b32_e32 v23, 0xff800000
	s_and_saveexec_b64 s[40:41], vcc
	s_cbranch_execz .LBB2_15
; %bb.14:                               ;   in Loop: Header=BB2_5 Depth=1
	global_load_dword v23, v[13:14], off
.LBB2_15:                               ;   in Loop: Header=BB2_5 Depth=1
	s_or_b64 exec, exec, s[40:41]
	s_or_b64 exec, exec, s[2:3]
	v_cmp_ge_i64_e32 vcc, s[10:11], v[19:20]
	s_and_saveexec_b64 s[2:3], vcc
	s_cbranch_execz .LBB2_4
.LBB2_16:                               ;   in Loop: Header=BB2_5 Depth=1
	s_waitcnt vmcnt(0)
	global_store_dword v[15:16], v23, off
	s_branch .LBB2_4
.LBB2_17:
	v_cmp_lt_i64_e64 s[0:1], 0, v[3:4]
	s_andn2_b64 vcc, exec, s[30:31]
	s_cbranch_vccnz .LBB2_45
; %bb.18:
	v_mad_u64_u32 v[11:12], s[2:3], s22, v0, 0
	s_load_dwordx2 s[14:15], s[4:5], 0x18
	v_mov_b32_e32 v14, s37
	s_load_dword s4, s[34:35], 0xc
	v_mad_u64_u32 v[12:13], s[2:3], s23, v0, v[12:13]
	v_add_co_u32_e32 v29, vcc, s36, v9
	s_waitcnt lgkmcnt(0)
	s_and_b32 s33, s4, 0xffff
	s_lshl_b64 s[36:37], s[20:21], 2
	v_lshlrev_b64 v[11:12], 2, v[11:12]
	s_add_u32 s2, s24, s36
	v_addc_co_u32_e32 v30, vcc, v14, v10, vcc
	s_addc_u32 s3, s25, s37
	v_mov_b32_e32 v10, s3
	v_add_co_u32_e32 v9, vcc, s2, v11
	v_addc_co_u32_e32 v10, vcc, v10, v12, vcc
	v_add_co_u32_e32 v13, vcc, -2, v0
	v_addc_co_u32_e64 v14, s[2:3], 0, -1, vcc
	v_mul_lo_u32 v16, s23, v13
	v_mul_lo_u32 v19, s22, v14
	v_mad_u64_u32 v[13:14], s[2:3], s22, v13, 0
	v_mov_b32_e32 v15, s25
	v_add_co_u32_e32 v11, vcc, s24, v11
	v_add3_u32 v14, v14, v19, v16
	v_lshlrev_b64 v[13:14], 2, v[13:14]
	v_addc_co_u32_e32 v12, vcc, v15, v12, vcc
	v_add_co_u32_e32 v13, vcc, s24, v13
	v_addc_co_u32_e32 v14, vcc, v15, v14, vcc
	v_add_co_u32_e32 v15, vcc, -1, v0
	v_addc_co_u32_e64 v16, s[2:3], 0, -1, vcc
	v_mul_lo_u32 v19, s23, v15
	v_mul_lo_u32 v20, s22, v16
	v_mad_u64_u32 v[15:16], s[2:3], s22, v15, 0
	s_mul_i32 s4, s23, s33
	s_mul_hi_u32 s5, s22, s33
	v_add3_u32 v16, v16, v20, v19
	s_add_i32 s3, s5, s4
	s_mul_i32 s2, s22, s33
	v_lshlrev_b64 v[15:16], 2, v[15:16]
	s_lshl_b64 s[38:39], s[2:3], 2
	s_lshl_b64 s[8:9], s[8:9], 2
	v_mov_b32_e32 v19, s25
	v_add_co_u32_e32 v15, vcc, s24, v15
	s_add_u32 s2, s26, s8
	v_addc_co_u32_e32 v16, vcc, v19, v16, vcc
	s_addc_u32 s3, s27, s9
	v_cmp_gt_i64_e64 s[34:35], s[14:15], 1
	v_mov_b32_e32 v19, s3
	v_add_co_u32_e32 v17, vcc, s2, v17
	s_mov_b64 s[30:31], 0
	v_addc_co_u32_e32 v18, vcc, v19, v18, vcc
	s_lshl_b64 s[12:13], s[12:13], 2
	s_mov_b32 s52, 0xff800000
	s_mov_b32 s53, 0x3fb8aa3b
	;; [unrolled: 1-line block ×7, first 2 shown]
	v_mov_b32_e32 v31, 0x7f800000
	v_mov_b32_e32 v32, 0x41b17218
	s_branch .LBB2_20
.LBB2_19:                               ;   in Loop: Header=BB2_20 Depth=1
	v_mov_b32_e32 v21, s39
	v_add_co_u32_e32 v9, vcc, s38, v9
	v_addc_co_u32_e32 v10, vcc, v10, v21, vcc
	v_add_co_u32_e32 v11, vcc, s38, v11
	v_addc_co_u32_e32 v12, vcc, v12, v21, vcc
	s_add_u32 s30, s30, s33
	v_add_co_u32_e32 v13, vcc, s38, v13
	v_mov_b32_e32 v20, s11
	s_addc_u32 s31, s31, 0
	v_addc_co_u32_e32 v14, vcc, v14, v21, vcc
	v_mov_b32_e32 v19, s10
	v_cmp_gt_i64_e32 vcc, s[30:31], v[19:20]
	v_add_co_u32_e64 v15, s[2:3], s38, v15
	v_addc_co_u32_e64 v16, s[2:3], v16, v21, s[2:3]
	s_cbranch_vccnz .LBB2_45
.LBB2_20:                               ; =>This Loop Header: Depth=1
                                        ;     Child Loop BB2_31 Depth 2
	v_mov_b32_e32 v22, s31
	v_lshlrev_b64 v[19:20], 1, v[3:4]
	v_add_co_u32_e32 v21, vcc, s30, v0
	v_addc_co_u32_e32 v22, vcc, 0, v22, vcc
	v_cmp_le_i64_e64 s[4:5], v[21:22], v[19:20]
	s_waitcnt vmcnt(0)
	v_mov_b32_e32 v23, s28
	s_and_b64 s[2:3], s[0:1], s[4:5]
	v_mov_b32_e32 v24, s29
	s_mov_b64 s[26:27], 0
	s_and_saveexec_b64 s[40:41], s[2:3]
	s_cbranch_execz .LBB2_28
; %bb.21:                               ;   in Loop: Header=BB2_20 Depth=1
	v_and_b32_e32 v19, 1, v21
	v_mov_b32_e32 v23, s28
	v_cmp_eq_u32_e32 vcc, 1, v19
	v_mov_b32_e32 v24, s29
	s_and_saveexec_b64 s[26:27], vcc
	s_cbranch_execz .LBB2_23
; %bb.22:                               ;   in Loop: Header=BB2_20 Depth=1
	v_alignbit_b32 v19, v22, v21, 1
	v_lshrrev_b32_e32 v24, 1, v22
	v_mul_lo_u32 v23, v19, s17
	v_mad_u64_u32 v[19:20], s[2:3], v19, s16, 0
	v_mul_lo_u32 v24, v24, s16
	v_add3_u32 v20, v20, v23, v24
	v_lshlrev_b64 v[19:20], 3, v[19:20]
	v_add_co_u32_e64 v19, s[2:3], v29, v19
	v_addc_co_u32_e64 v20, s[2:3], v30, v20, s[2:3]
	global_load_dwordx2 v[23:24], v[19:20], off
.LBB2_23:                               ;   in Loop: Header=BB2_20 Depth=1
	s_or_b64 exec, exec, s[26:27]
	v_cmp_lt_u64_e64 s[2:3], 1, v[21:22]
	s_mov_b64 s[42:43], 0
	s_and_saveexec_b64 s[26:27], s[2:3]
	s_cbranch_execz .LBB2_27
; %bb.24:                               ;   in Loop: Header=BB2_20 Depth=1
	v_mov_b32_e32 v19, s28
	v_mov_b32_e32 v20, s29
	s_and_saveexec_b64 s[2:3], vcc
	s_cbranch_execz .LBB2_26
; %bb.25:                               ;   in Loop: Header=BB2_20 Depth=1
	v_add_co_u32_e32 v19, vcc, -2, v21
	v_addc_co_u32_e32 v20, vcc, -1, v22, vcc
	v_lshrrev_b32_e32 v25, 31, v20
	v_add_co_u32_e32 v19, vcc, v19, v25
	v_addc_co_u32_e32 v20, vcc, 0, v20, vcc
	v_ashrrev_i64 v[19:20], 1, v[19:20]
	v_mul_lo_u32 v25, v20, s16
	v_mul_lo_u32 v26, v19, s17
	v_mad_u64_u32 v[19:20], s[42:43], v19, s16, 0
	v_add3_u32 v20, v20, v26, v25
	v_lshlrev_b64 v[19:20], 3, v[19:20]
	v_add_co_u32_e32 v19, vcc, v29, v19
	v_addc_co_u32_e32 v20, vcc, v30, v20, vcc
	global_load_dwordx2 v[19:20], v[19:20], off
.LBB2_26:                               ;   in Loop: Header=BB2_20 Depth=1
	s_or_b64 exec, exec, s[2:3]
	s_waitcnt vmcnt(0)
	v_cmp_ne_u64_e32 vcc, v[19:20], v[23:24]
	s_and_b64 s[42:43], vcc, exec
.LBB2_27:                               ;   in Loop: Header=BB2_20 Depth=1
	s_or_b64 exec, exec, s[26:27]
	s_and_b64 s[26:27], s[42:43], exec
.LBB2_28:                               ;   in Loop: Header=BB2_20 Depth=1
	s_or_b64 exec, exec, s[40:41]
	s_andn2_b64 vcc, exec, s[34:35]
	s_cbranch_vccnz .LBB2_19
; %bb.29:                               ;   in Loop: Header=BB2_20 Depth=1
	s_waitcnt vmcnt(0)
	v_mad_u64_u32 v[19:20], s[2:3], s12, v23, v[17:18]
	v_mul_lo_u32 v24, s12, v24
	v_mul_lo_u32 v23, s13, v23
	v_cmp_ge_i64_e32 vcc, s[10:11], v[21:22]
	v_cmp_ne_u64_e64 s[2:3], 0, v[21:22]
	v_mov_b32_e32 v22, v16
	v_add3_u32 v20, v23, v20, v24
	v_mov_b32_e32 v24, v14
	v_mov_b32_e32 v26, v12
	;; [unrolled: 1-line block ×3, first 2 shown]
	s_mov_b64 s[40:41], 1
	s_xor_b64 s[42:43], s[4:5], -1
	v_mov_b32_e32 v21, v15
	v_mov_b32_e32 v23, v13
	;; [unrolled: 1-line block ×4, first 2 shown]
	s_branch .LBB2_31
.LBB2_30:                               ;   in Loop: Header=BB2_31 Depth=2
	s_or_b64 exec, exec, s[46:47]
	v_mov_b32_e32 v33, s37
	v_add_co_u32_e64 v27, s[4:5], s36, v27
	v_addc_co_u32_e64 v28, s[4:5], v28, v33, s[4:5]
	v_add_co_u32_e64 v25, s[4:5], s36, v25
	v_addc_co_u32_e64 v26, s[4:5], v26, v33, s[4:5]
	;; [unrolled: 2-line block ×3, first 2 shown]
	v_add_co_u32_e64 v21, s[4:5], s36, v21
	s_add_u32 s40, s40, 1
	v_addc_co_u32_e64 v22, s[4:5], v22, v33, s[4:5]
	s_addc_u32 s41, s41, 0
	v_mov_b32_e32 v33, s9
	v_add_co_u32_e64 v19, s[4:5], s8, v19
	s_cmp_eq_u64 s[14:15], s[40:41]
	v_addc_co_u32_e64 v20, s[4:5], v20, v33, s[4:5]
	s_cbranch_scc1 .LBB2_19
.LBB2_31:                               ;   Parent Loop BB2_20 Depth=1
                                        ; =>  This Inner Loop Header: Depth=2
	v_cmp_ge_i64_e64 s[4:5], s[40:41], v[5:6]
	s_mov_b64 s[44:45], 0
	s_or_b64 s[4:5], s[42:43], s[4:5]
	s_waitcnt vmcnt(0)
	s_barrier
	s_and_saveexec_b64 s[46:47], s[4:5]
	s_xor_b64 s[4:5], exec, s[46:47]
	s_cbranch_execnz .LBB2_34
; %bb.32:                               ;   in Loop: Header=BB2_31 Depth=2
	s_or_saveexec_b64 s[46:47], s[4:5]
	v_mov_b32_e32 v33, 0xff800000
	s_xor_b64 exec, exec, s[46:47]
	s_cbranch_execnz .LBB2_35
.LBB2_33:                               ;   in Loop: Header=BB2_31 Depth=2
	s_or_b64 exec, exec, s[46:47]
	s_and_saveexec_b64 s[46:47], s[44:45]
	s_cbranch_execz .LBB2_30
	s_branch .LBB2_44
.LBB2_34:                               ;   in Loop: Header=BB2_31 Depth=2
	s_and_b64 s[44:45], vcc, exec
	s_or_saveexec_b64 s[46:47], s[4:5]
	v_mov_b32_e32 v33, 0xff800000
	s_xor_b64 exec, exec, s[46:47]
	s_cbranch_execz .LBB2_33
.LBB2_35:                               ;   in Loop: Header=BB2_31 Depth=2
	v_add_co_u32_e64 v33, s[4:5], v25, v7
	v_addc_co_u32_e64 v34, s[4:5], v26, v8, s[4:5]
	global_load_dword v33, v[33:34], off
	v_mov_b32_e32 v34, 0xff800000
	v_mov_b32_e32 v35, 0xff800000
	s_waitcnt vmcnt(0)
	v_mov_b32_e32 v36, v33
	s_and_saveexec_b64 s[48:49], s[2:3]
	s_cbranch_execz .LBB2_39
; %bb.36:                               ;   in Loop: Header=BB2_31 Depth=2
	v_add_co_u32_e64 v35, s[4:5], v21, v7
	v_addc_co_u32_e64 v36, s[4:5], v22, v8, s[4:5]
	global_load_dword v35, v[35:36], off
	v_mov_b32_e32 v36, v33
	s_waitcnt vmcnt(0)
	v_cmp_gt_f32_e64 s[4:5], v35, v33
	s_and_saveexec_b64 s[50:51], s[4:5]
; %bb.37:                               ;   in Loop: Header=BB2_31 Depth=2
	v_mov_b32_e32 v36, v35
; %bb.38:                               ;   in Loop: Header=BB2_31 Depth=2
	s_or_b64 exec, exec, s[50:51]
.LBB2_39:                               ;   in Loop: Header=BB2_31 Depth=2
	s_or_b64 exec, exec, s[48:49]
	s_and_saveexec_b64 s[48:49], s[26:27]
	s_cbranch_execz .LBB2_43
; %bb.40:                               ;   in Loop: Header=BB2_31 Depth=2
	v_add_co_u32_e64 v37, s[4:5], v23, v7
	v_addc_co_u32_e64 v38, s[4:5], v24, v8, s[4:5]
	global_load_dword v34, v[37:38], off
	s_waitcnt vmcnt(0)
	v_cmp_gt_f32_e64 s[4:5], v34, v36
	s_and_saveexec_b64 s[50:51], s[4:5]
; %bb.41:                               ;   in Loop: Header=BB2_31 Depth=2
	v_mov_b32_e32 v36, v34
; %bb.42:                               ;   in Loop: Header=BB2_31 Depth=2
	s_or_b64 exec, exec, s[50:51]
.LBB2_43:                               ;   in Loop: Header=BB2_31 Depth=2
	s_or_b64 exec, exec, s[48:49]
	global_load_dword v37, v[19:20], off
	v_cmp_neq_f32_e64 s[4:5], s52, v36
	v_cndmask_b32_e64 v36, 0, v36, s[4:5]
	v_sub_f32_e32 v33, v33, v36
	v_sub_f32_e32 v35, v35, v36
	v_mul_f32_e32 v38, 0x3fb8aa3b, v33
	v_sub_f32_e32 v34, v34, v36
	v_mul_f32_e32 v39, 0x3fb8aa3b, v35
	v_fma_f32 v41, v33, s53, -v38
	v_rndne_f32_e32 v42, v38
	v_mul_f32_e32 v40, 0x3fb8aa3b, v34
	v_fma_f32 v43, v35, s53, -v39
	v_rndne_f32_e32 v44, v39
	v_fmac_f32_e32 v41, 0x32a5705f, v33
	v_sub_f32_e32 v38, v38, v42
	v_fma_f32 v45, v34, s53, -v40
	v_rndne_f32_e32 v46, v40
	v_fmac_f32_e32 v43, 0x32a5705f, v35
	v_sub_f32_e32 v39, v39, v44
	v_add_f32_e32 v38, v38, v41
	v_cvt_i32_f32_e32 v42, v42
	v_fmac_f32_e32 v45, 0x32a5705f, v34
	v_sub_f32_e32 v40, v40, v46
	v_add_f32_e32 v39, v39, v43
	v_exp_f32_e32 v38, v38
	v_cvt_i32_f32_e32 v44, v44
	v_add_f32_e32 v40, v40, v45
	v_exp_f32_e32 v39, v39
	v_cvt_i32_f32_e32 v46, v46
	v_exp_f32_e32 v40, v40
	v_ldexp_f32 v38, v38, v42
	v_cmp_ngt_f32_e64 s[4:5], s54, v33
	v_ldexp_f32 v39, v39, v44
	v_cndmask_b32_e64 v38, 0, v38, s[4:5]
	v_cmp_ngt_f32_e64 s[4:5], s54, v35
	v_ldexp_f32 v40, v40, v46
	v_cndmask_b32_e64 v39, 0, v39, s[4:5]
	v_cmp_ngt_f32_e64 s[4:5], s54, v34
	v_cndmask_b32_e64 v40, 0, v40, s[4:5]
	v_cmp_nlt_f32_e64 s[4:5], s55, v33
	v_cndmask_b32_e64 v33, v31, v38, s[4:5]
	v_cmp_nlt_f32_e64 s[4:5], s55, v35
	;; [unrolled: 2-line block ×3, first 2 shown]
	v_cndmask_b32_e64 v34, v31, v40, s[4:5]
	v_add_f32_e32 v33, v33, v35
	v_add_f32_e32 v33, v34, v33
	v_cmp_gt_f32_e64 s[4:5], s57, v33
	v_cndmask_b32_e64 v34, 0, 32, s[4:5]
	v_ldexp_f32 v33, v33, v34
	v_log_f32_e32 v33, v33
	v_cndmask_b32_e64 v34, 0, v32, s[4:5]
	s_or_b64 s[44:45], s[44:45], exec
	v_mul_f32_e32 v35, 0x3f317217, v33
	v_fma_f32 v35, v33, s58, -v35
	v_fmac_f32_e32 v35, 0x3377d1cf, v33
	v_fmac_f32_e32 v35, 0x3f317217, v33
	v_cmp_lt_f32_e64 s[4:5], |v33|, s56
	v_cndmask_b32_e64 v33, v33, v35, s[4:5]
	v_sub_f32_e32 v33, v33, v34
	v_add_f32_e32 v33, v36, v33
	s_waitcnt vmcnt(0)
	v_add_f32_e32 v33, v37, v33
	s_or_b64 exec, exec, s[46:47]
	s_and_saveexec_b64 s[46:47], s[44:45]
	s_cbranch_execz .LBB2_30
.LBB2_44:                               ;   in Loop: Header=BB2_31 Depth=2
	v_add_co_u32_e64 v34, s[4:5], v27, v7
	v_addc_co_u32_e64 v35, s[4:5], v28, v8, s[4:5]
	global_store_dword v[34:35], v33, off
	s_branch .LBB2_30
.LBB2_45:
	v_cmp_eq_u32_e32 vcc, 0, v0
	s_waitcnt vmcnt(0)
	s_barrier
	s_and_saveexec_b64 s[2:3], vcc
	s_cbranch_execz .LBB2_49
; %bb.46:
	v_add_co_u32_e32 v0, vcc, -1, v5
	v_addc_co_u32_e32 v5, vcc, -1, v6, vcc
	v_mul_lo_u32 v11, v5, s20
	v_mul_lo_u32 v12, v0, s21
	v_mad_u64_u32 v[9:10], s[0:1], v0, s20, 0
	v_mul_lo_u32 v0, v4, s22
	v_mul_lo_u32 v13, v3, s23
	v_mad_u64_u32 v[5:6], s[0:1], v3, s22, 0
	v_add3_u32 v10, v10, v12, v11
	v_add_co_u32_e32 v7, vcc, s24, v7
	v_add3_u32 v6, v6, v13, v0
	v_mov_b32_e32 v0, s25
	v_addc_co_u32_e32 v0, vcc, v0, v8, vcc
	v_lshlrev_b64 v[8:9], 2, v[9:10]
	v_lshlrev_b64 v[10:11], 3, v[5:6]
	v_add_co_u32_e32 v8, vcc, v7, v8
	v_addc_co_u32_e32 v9, vcc, v0, v9, vcc
	v_add_co_u32_e32 v10, vcc, v8, v10
	v_addc_co_u32_e32 v11, vcc, v9, v11, vcc
	global_load_dword v7, v[10:11], off
	v_cmp_lt_i64_e32 vcc, 0, v[3:4]
	v_mov_b32_e32 v0, 0xff800000
	s_and_saveexec_b64 s[0:1], vcc
	s_cbranch_execz .LBB2_48
; %bb.47:
	v_lshlrev_b64 v[3:4], 1, v[5:6]
	v_mov_b32_e32 v0, s23
	v_subrev_co_u32_e32 v3, vcc, s22, v3
	v_subb_co_u32_e32 v4, vcc, v4, v0, vcc
	v_lshlrev_b64 v[3:4], 2, v[3:4]
	v_add_co_u32_e32 v3, vcc, v8, v3
	v_addc_co_u32_e32 v4, vcc, v9, v4, vcc
	global_load_dword v0, v[3:4], off
.LBB2_48:
	s_or_b64 exec, exec, s[0:1]
	s_waitcnt vmcnt(0)
	v_cmp_gt_f32_e32 vcc, v7, v0
	v_cndmask_b32_e32 v3, v0, v7, vcc
	s_mov_b32 s0, 0xff800000
	v_cmp_neq_f32_e32 vcc, s0, v3
	v_cndmask_b32_e32 v3, 0, v3, vcc
	v_sub_f32_e32 v4, v7, v3
	s_mov_b32 s0, 0x3fb8aa3b
	v_mul_f32_e32 v5, 0x3fb8aa3b, v4
	v_fma_f32 v6, v4, s0, -v5
	v_rndne_f32_e32 v7, v5
	v_fmac_f32_e32 v6, 0x32a5705f, v4
	v_sub_f32_e32 v5, v5, v7
	v_add_f32_e32 v5, v5, v6
	v_exp_f32_e32 v5, v5
	v_cvt_i32_f32_e32 v6, v7
	v_sub_f32_e32 v0, v0, v3
	s_mov_b32 s1, 0xc2ce8ed0
	v_cmp_ngt_f32_e32 vcc, s1, v4
	v_ldexp_f32 v5, v5, v6
	v_mul_f32_e32 v6, 0x3fb8aa3b, v0
	v_fma_f32 v7, v0, s0, -v6
	v_rndne_f32_e32 v8, v6
	v_fmac_f32_e32 v7, 0x32a5705f, v0
	v_sub_f32_e32 v6, v6, v8
	v_add_f32_e32 v6, v6, v7
	v_exp_f32_e32 v6, v6
	v_cvt_i32_f32_e32 v7, v8
	s_mov_b32 s4, 0x42b17218
	v_cndmask_b32_e32 v5, 0, v5, vcc
	v_mov_b32_e32 v8, 0x7f800000
	v_cmp_nlt_f32_e32 vcc, s4, v4
	v_cndmask_b32_e32 v4, v8, v5, vcc
	v_ldexp_f32 v5, v6, v7
	v_cmp_ngt_f32_e32 vcc, s1, v0
	v_cndmask_b32_e32 v5, 0, v5, vcc
	v_cmp_nlt_f32_e32 vcc, s4, v0
	v_cndmask_b32_e32 v0, v8, v5, vcc
	v_add_f32_e32 v0, v4, v0
	s_mov_b32 s0, 0x800000
	v_cmp_gt_f32_e32 vcc, s0, v0
	v_cndmask_b32_e64 v4, 0, 32, vcc
	v_ldexp_f32 v0, v0, v4
	v_log_f32_e32 v0, v0
	s_mov_b32 s1, 0x3f317217
	s_mov_b32 s0, 0x7f800000
	v_mul_f32_e32 v4, 0x3f317217, v0
	v_fma_f32 v4, v0, s1, -v4
	v_fmac_f32_e32 v4, 0x3377d1cf, v0
	v_fmac_f32_e32 v4, 0x3f317217, v0
	v_cmp_lt_f32_e64 s[0:1], |v0|, s0
	v_cndmask_b32_e64 v0, v0, v4, s[0:1]
	v_mov_b32_e32 v4, 0x41b17218
	v_cndmask_b32_e32 v4, 0, v4, vcc
	v_sub_f32_e32 v0, v0, v4
	v_add_f32_e32 v0, v3, v0
	v_xor_b32_e32 v3, 0x80000000, v0
	v_lshlrev_b64 v[0:1], 2, v[1:2]
	v_mov_b32_e32 v2, s7
	v_add_co_u32_e32 v0, vcc, s6, v0
	v_addc_co_u32_e32 v1, vcc, v2, v1, vcc
	global_store_dword v[0:1], v3, off
.LBB2_49:
	s_or_b64 exec, exec, s[2:3]
                                        ; implicit-def: $vgpr0
                                        ; implicit-def: $vgpr1_vgpr2
                                        ; implicit-def: $vgpr3_vgpr4
.LBB2_50:
	s_andn2_saveexec_b64 s[0:1], s[18:19]
	s_cbranch_execz .LBB2_53
; %bb.51:
	v_cmp_eq_u32_e32 vcc, 0, v0
	s_and_b64 exec, exec, vcc
	s_cbranch_execz .LBB2_53
; %bb.52:
	v_lshlrev_b64 v[0:1], 2, v[1:2]
	v_mov_b32_e32 v2, s7
	v_add_co_u32_e32 v0, vcc, s6, v0
	v_addc_co_u32_e32 v1, vcc, v2, v1, vcc
	s_waitcnt vmcnt(0)
	v_cmp_eq_u64_e32 vcc, 0, v[3:4]
	v_mov_b32_e32 v2, 0x7f800000
	v_bfrev_b32_e32 v5, 1
	v_cndmask_b32_e32 v2, v2, v5, vcc
	global_store_dword v[0:1], v2, off
.LBB2_53:
	s_endpgm
	.section	.rodata,"a",@progbits
	.p2align	6, 0x0
	.amdhsa_kernel _ZN2at6native12_GLOBAL__N_129ctc_loss_log_alpha_gpu_kernelIflEEvPT_PKS3_PKllPKT0_S8_lS4_llllllS8_lll
		.amdhsa_group_segment_fixed_size 0
		.amdhsa_private_segment_fixed_size 0
		.amdhsa_kernarg_size 400
		.amdhsa_user_sgpr_count 6
		.amdhsa_user_sgpr_private_segment_buffer 1
		.amdhsa_user_sgpr_dispatch_ptr 0
		.amdhsa_user_sgpr_queue_ptr 0
		.amdhsa_user_sgpr_kernarg_segment_ptr 1
		.amdhsa_user_sgpr_dispatch_id 0
		.amdhsa_user_sgpr_flat_scratch_init 0
		.amdhsa_user_sgpr_private_segment_size 0
		.amdhsa_uses_dynamic_stack 0
		.amdhsa_system_sgpr_private_segment_wavefront_offset 0
		.amdhsa_system_sgpr_workgroup_id_x 1
		.amdhsa_system_sgpr_workgroup_id_y 1
		.amdhsa_system_sgpr_workgroup_id_z 0
		.amdhsa_system_sgpr_workgroup_info 0
		.amdhsa_system_vgpr_workitem_id 1
		.amdhsa_next_free_vgpr 47
		.amdhsa_next_free_sgpr 59
		.amdhsa_reserve_vcc 1
		.amdhsa_reserve_flat_scratch 0
		.amdhsa_float_round_mode_32 0
		.amdhsa_float_round_mode_16_64 0
		.amdhsa_float_denorm_mode_32 3
		.amdhsa_float_denorm_mode_16_64 3
		.amdhsa_dx10_clamp 1
		.amdhsa_ieee_mode 1
		.amdhsa_fp16_overflow 0
		.amdhsa_exception_fp_ieee_invalid_op 0
		.amdhsa_exception_fp_denorm_src 0
		.amdhsa_exception_fp_ieee_div_zero 0
		.amdhsa_exception_fp_ieee_overflow 0
		.amdhsa_exception_fp_ieee_underflow 0
		.amdhsa_exception_fp_ieee_inexact 0
		.amdhsa_exception_int_div_zero 0
	.end_amdhsa_kernel
	.section	.text._ZN2at6native12_GLOBAL__N_129ctc_loss_log_alpha_gpu_kernelIflEEvPT_PKS3_PKllPKT0_S8_lS4_llllllS8_lll,"axG",@progbits,_ZN2at6native12_GLOBAL__N_129ctc_loss_log_alpha_gpu_kernelIflEEvPT_PKS3_PKllPKT0_S8_lS4_llllllS8_lll,comdat
.Lfunc_end2:
	.size	_ZN2at6native12_GLOBAL__N_129ctc_loss_log_alpha_gpu_kernelIflEEvPT_PKS3_PKllPKT0_S8_lS4_llllllS8_lll, .Lfunc_end2-_ZN2at6native12_GLOBAL__N_129ctc_loss_log_alpha_gpu_kernelIflEEvPT_PKS3_PKllPKT0_S8_lS4_llllllS8_lll
                                        ; -- End function
	.set _ZN2at6native12_GLOBAL__N_129ctc_loss_log_alpha_gpu_kernelIflEEvPT_PKS3_PKllPKT0_S8_lS4_llllllS8_lll.num_vgpr, 47
	.set _ZN2at6native12_GLOBAL__N_129ctc_loss_log_alpha_gpu_kernelIflEEvPT_PKS3_PKllPKT0_S8_lS4_llllllS8_lll.num_agpr, 0
	.set _ZN2at6native12_GLOBAL__N_129ctc_loss_log_alpha_gpu_kernelIflEEvPT_PKS3_PKllPKT0_S8_lS4_llllllS8_lll.numbered_sgpr, 59
	.set _ZN2at6native12_GLOBAL__N_129ctc_loss_log_alpha_gpu_kernelIflEEvPT_PKS3_PKllPKT0_S8_lS4_llllllS8_lll.num_named_barrier, 0
	.set _ZN2at6native12_GLOBAL__N_129ctc_loss_log_alpha_gpu_kernelIflEEvPT_PKS3_PKllPKT0_S8_lS4_llllllS8_lll.private_seg_size, 0
	.set _ZN2at6native12_GLOBAL__N_129ctc_loss_log_alpha_gpu_kernelIflEEvPT_PKS3_PKllPKT0_S8_lS4_llllllS8_lll.uses_vcc, 1
	.set _ZN2at6native12_GLOBAL__N_129ctc_loss_log_alpha_gpu_kernelIflEEvPT_PKS3_PKllPKT0_S8_lS4_llllllS8_lll.uses_flat_scratch, 0
	.set _ZN2at6native12_GLOBAL__N_129ctc_loss_log_alpha_gpu_kernelIflEEvPT_PKS3_PKllPKT0_S8_lS4_llllllS8_lll.has_dyn_sized_stack, 0
	.set _ZN2at6native12_GLOBAL__N_129ctc_loss_log_alpha_gpu_kernelIflEEvPT_PKS3_PKllPKT0_S8_lS4_llllllS8_lll.has_recursion, 0
	.set _ZN2at6native12_GLOBAL__N_129ctc_loss_log_alpha_gpu_kernelIflEEvPT_PKS3_PKllPKT0_S8_lS4_llllllS8_lll.has_indirect_call, 0
	.section	.AMDGPU.csdata,"",@progbits
; Kernel info:
; codeLenInByte = 3116
; TotalNumSgprs: 63
; NumVgprs: 47
; ScratchSize: 0
; MemoryBound: 0
; FloatMode: 240
; IeeeMode: 1
; LDSByteSize: 0 bytes/workgroup (compile time only)
; SGPRBlocks: 7
; VGPRBlocks: 11
; NumSGPRsForWavesPerEU: 63
; NumVGPRsForWavesPerEU: 47
; Occupancy: 5
; WaveLimiterHint : 1
; COMPUTE_PGM_RSRC2:SCRATCH_EN: 0
; COMPUTE_PGM_RSRC2:USER_SGPR: 6
; COMPUTE_PGM_RSRC2:TRAP_HANDLER: 0
; COMPUTE_PGM_RSRC2:TGID_X_EN: 1
; COMPUTE_PGM_RSRC2:TGID_Y_EN: 1
; COMPUTE_PGM_RSRC2:TGID_Z_EN: 0
; COMPUTE_PGM_RSRC2:TIDIG_COMP_CNT: 1
	.section	.text._ZN2at6native12_GLOBAL__N_129ctc_loss_log_alpha_gpu_kernelIfiEEvPT_PKS3_PKllPKT0_S8_lS4_llllllS8_lll,"axG",@progbits,_ZN2at6native12_GLOBAL__N_129ctc_loss_log_alpha_gpu_kernelIfiEEvPT_PKS3_PKllPKT0_S8_lS4_llllllS8_lll,comdat
	.globl	_ZN2at6native12_GLOBAL__N_129ctc_loss_log_alpha_gpu_kernelIfiEEvPT_PKS3_PKllPKT0_S8_lS4_llllllS8_lll ; -- Begin function _ZN2at6native12_GLOBAL__N_129ctc_loss_log_alpha_gpu_kernelIfiEEvPT_PKS3_PKllPKT0_S8_lS4_llllllS8_lll
	.p2align	8
	.type	_ZN2at6native12_GLOBAL__N_129ctc_loss_log_alpha_gpu_kernelIfiEEvPT_PKS3_PKllPKT0_S8_lS4_llllllS8_lll,@function
_ZN2at6native12_GLOBAL__N_129ctc_loss_log_alpha_gpu_kernelIfiEEvPT_PKS3_PKllPKT0_S8_lS4_llllllS8_lll: ; @_ZN2at6native12_GLOBAL__N_129ctc_loss_log_alpha_gpu_kernelIfiEEvPT_PKS3_PKllPKT0_S8_lS4_llllllS8_lll
; %bb.0:
	s_load_dword s0, s[4:5], 0x9c
	s_load_dwordx4 s[16:19], s[4:5], 0x78
	s_add_u32 s34, s4, 0x90
	s_addc_u32 s35, s5, 0
	v_mov_b32_e32 v2, 0
	s_waitcnt lgkmcnt(0)
	s_lshr_b32 s0, s0, 16
	s_mul_i32 s7, s7, s0
	v_add_u32_e32 v1, s7, v1
	v_cmp_gt_i64_e32 vcc, s[18:19], v[1:2]
	s_and_saveexec_b64 s[0:1], vcc
	s_cbranch_execz .LBB3_53
; %bb.1:
	s_load_dwordx2 s[0:1], s[4:5], 0x10
	s_load_dwordx2 s[2:3], s[4:5], 0x28
	;; [unrolled: 1-line block ×3, first 2 shown]
	v_lshlrev_b64 v[7:8], 3, v[1:2]
	s_waitcnt lgkmcnt(0)
	v_mov_b32_e32 v4, s1
	v_add_co_u32_e32 v3, vcc, s0, v7
	v_addc_co_u32_e32 v4, vcc, v4, v8, vcc
	global_load_dwordx2 v[5:6], v[3:4], off
	v_mov_b32_e32 v4, s3
	v_add_co_u32_e32 v3, vcc, s2, v7
	v_addc_co_u32_e32 v4, vcc, v4, v8, vcc
	global_load_dwordx2 v[3:4], v[3:4], off
	s_waitcnt vmcnt(1)
	v_cmp_ne_u64_e32 vcc, 0, v[5:6]
	s_and_saveexec_b64 s[0:1], vcc
	s_xor_b64 s[18:19], exec, s[0:1]
	s_cbranch_execz .LBB3_50
; %bb.2:
	s_load_dwordx2 s[0:1], s[4:5], 0x70
	s_load_dwordx4 s[20:23], s[4:5], 0x60
	s_load_dwordx2 s[28:29], s[4:5], 0x88
	s_waitcnt lgkmcnt(0)
	v_mov_b32_e32 v9, s1
	v_add_co_u32_e32 v7, vcc, s0, v7
	v_addc_co_u32_e32 v8, vcc, v9, v8, vcc
	global_load_dwordx2 v[9:10], v[7:8], off
	s_load_dwordx8 s[8:15], s[4:5], 0x40
	s_load_dwordx4 s[24:27], s[4:5], 0x0
	s_load_dwordx2 s[36:37], s[4:5], 0x20
	s_load_dwordx2 s[0:1], s[4:5], 0x30
	s_waitcnt lgkmcnt(0)
	v_mad_u64_u32 v[7:8], s[2:3], s10, v1, 0
	v_mad_u64_u32 v[11:12], s[2:3], s14, v1, 0
	v_cmp_gt_i64_e64 s[30:31], s[0:1], -1
	s_and_b64 vcc, exec, s[30:31]
	s_waitcnt vmcnt(0)
	v_mad_u64_u32 v[13:14], s[2:3], s11, v1, v[8:9]
	v_lshlrev_b64 v[9:10], 2, v[9:10]
	s_lshl_b64 s[10:11], s[0:1], 1
	v_mad_u64_u32 v[14:15], s[2:3], s15, v1, v[12:13]
	v_mov_b32_e32 v8, v13
	v_lshlrev_b64 v[17:18], 2, v[7:8]
	v_mov_b32_e32 v12, v14
	v_lshlrev_b64 v[7:8], 2, v[11:12]
	s_cbranch_vccz .LBB3_17
; %bb.3:
	s_mul_i32 s2, s28, s13
	s_mul_hi_u32 s3, s28, s12
	v_mad_u64_u32 v[15:16], s[38:39], s22, v0, 0
	v_mov_b32_e32 v12, s37
	v_add_co_u32_e32 v11, vcc, s36, v9
	s_add_i32 s2, s3, s2
	s_mul_i32 s3, s29, s12
	v_addc_co_u32_e32 v12, vcc, v12, v10, vcc
	s_add_i32 s3, s2, s3
	s_mul_i32 s2, s28, s12
	v_mov_b32_e32 v13, s27
	v_add_co_u32_e32 v21, vcc, s26, v17
	s_lshl_b64 s[2:3], s[2:3], 2
	v_addc_co_u32_e32 v22, vcc, v13, v18, vcc
	v_mov_b32_e32 v14, s3
	v_mov_b32_e32 v13, v16
	v_mad_u64_u32 v[19:20], s[38:39], s23, v0, v[13:14]
	s_load_dword s3, s[34:35], 0xc
	v_add_co_u32_e32 v13, vcc, s2, v21
	v_mov_b32_e32 v16, v19
	v_lshlrev_b64 v[15:16], 2, v[15:16]
	v_addc_co_u32_e32 v14, vcc, v22, v14, vcc
	s_waitcnt lgkmcnt(0)
	s_and_b32 s33, s3, 0xffff
	v_add_co_u32_e32 v15, vcc, v15, v7
	v_addc_co_u32_e32 v16, vcc, v16, v8, vcc
	s_mul_i32 s2, s23, s33
	s_mul_hi_u32 s3, s22, s33
	v_cmp_ne_u64_e64 s[0:1], 0, v[3:4]
	v_mov_b32_e32 v19, s25
	v_add_co_u32_e32 v15, vcc, s24, v15
	s_add_i32 s3, s3, s2
	s_mul_i32 s2, s22, s33
	s_mov_b64 s[14:15], 0
	v_addc_co_u32_e32 v16, vcc, v19, v16, vcc
	s_lshl_b64 s[38:39], s[2:3], 2
	s_branch .LBB3_5
.LBB3_4:                                ;   in Loop: Header=BB3_5 Depth=1
	s_or_b64 exec, exec, s[2:3]
	s_add_u32 s14, s14, s33
	v_mov_b32_e32 v20, s11
	s_addc_u32 s15, s15, 0
	v_mov_b32_e32 v19, s10
	v_cmp_gt_i64_e32 vcc, s[14:15], v[19:20]
	s_waitcnt vmcnt(0)
	v_mov_b32_e32 v23, s39
	v_add_co_u32_e64 v15, s[2:3], s38, v15
	v_addc_co_u32_e64 v16, s[2:3], v16, v23, s[2:3]
	s_cbranch_vccnz .LBB3_17
.LBB3_5:                                ; =>This Inner Loop Header: Depth=1
	v_mov_b32_e32 v20, s15
	v_add_co_u32_e32 v19, vcc, s14, v0
	v_addc_co_u32_e32 v20, vcc, 0, v20, vcc
	v_cmp_lt_i64_e32 vcc, 0, v[19:20]
                                        ; implicit-def: $vgpr23
	s_and_saveexec_b64 s[2:3], vcc
	s_xor_b64 s[2:3], exec, s[2:3]
	s_cbranch_execnz .LBB3_8
; %bb.6:                                ;   in Loop: Header=BB3_5 Depth=1
	s_andn2_saveexec_b64 s[2:3], s[2:3]
	s_cbranch_execnz .LBB3_13
.LBB3_7:                                ;   in Loop: Header=BB3_5 Depth=1
	s_or_b64 exec, exec, s[2:3]
	v_cmp_ge_i64_e32 vcc, s[10:11], v[19:20]
	s_and_saveexec_b64 s[2:3], vcc
	s_cbranch_execz .LBB3_4
	s_branch .LBB3_16
.LBB3_8:                                ;   in Loop: Header=BB3_5 Depth=1
	v_cmp_eq_u64_e32 vcc, 1, v[19:20]
	v_mov_b32_e32 v23, 0xff800000
	s_and_saveexec_b64 s[40:41], vcc
	s_cbranch_execz .LBB3_12
; %bb.9:                                ;   in Loop: Header=BB3_5 Depth=1
	v_mov_b32_e32 v23, 0xff800000
	s_and_saveexec_b64 s[42:43], s[0:1]
	s_cbranch_execz .LBB3_11
; %bb.10:                               ;   in Loop: Header=BB3_5 Depth=1
	global_load_dword v23, v[11:12], off
	s_waitcnt vmcnt(0)
	v_ashrrev_i32_e32 v25, 31, v23
	v_mul_lo_u32 v26, s13, v23
	v_mad_u64_u32 v[23:24], s[44:45], s12, v23, 0
	v_mul_lo_u32 v25, s12, v25
	v_add3_u32 v24, v24, v25, v26
	v_lshlrev_b64 v[23:24], 2, v[23:24]
	v_add_co_u32_e32 v23, vcc, v21, v23
	v_addc_co_u32_e32 v24, vcc, v22, v24, vcc
	global_load_dword v23, v[23:24], off
.LBB3_11:                               ;   in Loop: Header=BB3_5 Depth=1
	s_or_b64 exec, exec, s[42:43]
.LBB3_12:                               ;   in Loop: Header=BB3_5 Depth=1
	s_or_b64 exec, exec, s[40:41]
	s_andn2_saveexec_b64 s[2:3], s[2:3]
	s_cbranch_execz .LBB3_7
.LBB3_13:                               ;   in Loop: Header=BB3_5 Depth=1
	v_cmp_eq_u64_e32 vcc, 0, v[19:20]
	s_waitcnt vmcnt(0)
	v_mov_b32_e32 v23, 0xff800000
	s_and_saveexec_b64 s[40:41], vcc
	s_cbranch_execz .LBB3_15
; %bb.14:                               ;   in Loop: Header=BB3_5 Depth=1
	global_load_dword v23, v[13:14], off
.LBB3_15:                               ;   in Loop: Header=BB3_5 Depth=1
	s_or_b64 exec, exec, s[40:41]
	s_or_b64 exec, exec, s[2:3]
	v_cmp_ge_i64_e32 vcc, s[10:11], v[19:20]
	s_and_saveexec_b64 s[2:3], vcc
	s_cbranch_execz .LBB3_4
.LBB3_16:                               ;   in Loop: Header=BB3_5 Depth=1
	s_waitcnt vmcnt(0)
	global_store_dword v[15:16], v23, off
	s_branch .LBB3_4
.LBB3_17:
	v_cmp_lt_i64_e64 s[0:1], 0, v[3:4]
	s_andn2_b64 vcc, exec, s[30:31]
	s_cbranch_vccnz .LBB3_45
; %bb.18:
	v_mad_u64_u32 v[11:12], s[2:3], s22, v0, 0
	s_load_dwordx2 s[14:15], s[4:5], 0x18
	v_mov_b32_e32 v14, s37
	s_load_dword s4, s[34:35], 0xc
	v_mad_u64_u32 v[12:13], s[2:3], s23, v0, v[12:13]
	v_add_co_u32_e32 v29, vcc, s36, v9
	s_waitcnt lgkmcnt(0)
	s_and_b32 s33, s4, 0xffff
	s_lshl_b64 s[36:37], s[20:21], 2
	v_lshlrev_b64 v[11:12], 2, v[11:12]
	s_add_u32 s2, s24, s36
	v_addc_co_u32_e32 v30, vcc, v14, v10, vcc
	s_addc_u32 s3, s25, s37
	v_mov_b32_e32 v10, s3
	v_add_co_u32_e32 v9, vcc, s2, v11
	v_addc_co_u32_e32 v10, vcc, v10, v12, vcc
	v_add_co_u32_e32 v13, vcc, -2, v0
	v_addc_co_u32_e64 v14, s[2:3], 0, -1, vcc
	v_mul_lo_u32 v16, s23, v13
	v_mul_lo_u32 v19, s22, v14
	v_mad_u64_u32 v[13:14], s[2:3], s22, v13, 0
	v_mov_b32_e32 v15, s25
	v_add_co_u32_e32 v11, vcc, s24, v11
	v_add3_u32 v14, v14, v19, v16
	v_lshlrev_b64 v[13:14], 2, v[13:14]
	v_addc_co_u32_e32 v12, vcc, v15, v12, vcc
	v_add_co_u32_e32 v13, vcc, s24, v13
	v_addc_co_u32_e32 v14, vcc, v15, v14, vcc
	v_add_co_u32_e32 v15, vcc, -1, v0
	v_addc_co_u32_e64 v16, s[2:3], 0, -1, vcc
	v_mul_lo_u32 v19, s23, v15
	v_mul_lo_u32 v20, s22, v16
	v_mad_u64_u32 v[15:16], s[2:3], s22, v15, 0
	s_mul_i32 s4, s23, s33
	s_mul_hi_u32 s5, s22, s33
	v_add3_u32 v16, v16, v20, v19
	s_add_i32 s3, s5, s4
	s_mul_i32 s2, s22, s33
	v_lshlrev_b64 v[15:16], 2, v[15:16]
	s_lshl_b64 s[38:39], s[2:3], 2
	s_lshl_b64 s[8:9], s[8:9], 2
	v_mov_b32_e32 v19, s25
	v_add_co_u32_e32 v15, vcc, s24, v15
	s_add_u32 s2, s26, s8
	v_addc_co_u32_e32 v16, vcc, v19, v16, vcc
	s_addc_u32 s3, s27, s9
	v_cmp_gt_i64_e64 s[34:35], s[14:15], 1
	v_mov_b32_e32 v19, s3
	v_add_co_u32_e32 v17, vcc, s2, v17
	s_mov_b64 s[30:31], 0
	v_addc_co_u32_e32 v18, vcc, v19, v18, vcc
	s_lshl_b64 s[12:13], s[12:13], 2
	s_mov_b32 s52, 0xff800000
	s_mov_b32 s53, 0x3fb8aa3b
	;; [unrolled: 1-line block ×7, first 2 shown]
	v_mov_b32_e32 v31, 0x7f800000
	v_mov_b32_e32 v32, 0x41b17218
	s_branch .LBB3_20
.LBB3_19:                               ;   in Loop: Header=BB3_20 Depth=1
	v_mov_b32_e32 v21, s39
	v_add_co_u32_e32 v9, vcc, s38, v9
	v_addc_co_u32_e32 v10, vcc, v10, v21, vcc
	v_add_co_u32_e32 v11, vcc, s38, v11
	v_addc_co_u32_e32 v12, vcc, v12, v21, vcc
	s_add_u32 s30, s30, s33
	v_add_co_u32_e32 v13, vcc, s38, v13
	v_mov_b32_e32 v20, s11
	s_addc_u32 s31, s31, 0
	v_addc_co_u32_e32 v14, vcc, v14, v21, vcc
	v_mov_b32_e32 v19, s10
	v_cmp_gt_i64_e32 vcc, s[30:31], v[19:20]
	v_add_co_u32_e64 v15, s[2:3], s38, v15
	v_addc_co_u32_e64 v16, s[2:3], v16, v21, s[2:3]
	s_cbranch_vccnz .LBB3_45
.LBB3_20:                               ; =>This Loop Header: Depth=1
                                        ;     Child Loop BB3_31 Depth 2
	v_mov_b32_e32 v22, s31
	v_lshlrev_b64 v[19:20], 1, v[3:4]
	v_add_co_u32_e32 v21, vcc, s30, v0
	v_addc_co_u32_e32 v22, vcc, 0, v22, vcc
	v_cmp_le_i64_e64 s[4:5], v[21:22], v[19:20]
	v_mov_b32_e32 v23, s28
	s_and_b64 s[2:3], s[0:1], s[4:5]
	v_mov_b32_e32 v24, s29
	s_mov_b64 s[26:27], 0
	s_and_saveexec_b64 s[40:41], s[2:3]
	s_cbranch_execz .LBB3_28
; %bb.21:                               ;   in Loop: Header=BB3_20 Depth=1
	v_and_b32_e32 v19, 1, v21
	v_mov_b32_e32 v23, s28
	v_cmp_eq_u32_e32 vcc, 1, v19
	v_mov_b32_e32 v24, s29
	s_and_saveexec_b64 s[26:27], vcc
	s_cbranch_execz .LBB3_23
; %bb.22:                               ;   in Loop: Header=BB3_20 Depth=1
	v_alignbit_b32 v19, v22, v21, 1
	v_lshrrev_b32_e32 v24, 1, v22
	v_mul_lo_u32 v23, v19, s17
	v_mad_u64_u32 v[19:20], s[2:3], v19, s16, 0
	v_mul_lo_u32 v24, v24, s16
	v_add3_u32 v20, v20, v23, v24
	v_lshlrev_b64 v[19:20], 2, v[19:20]
	v_add_co_u32_e64 v19, s[2:3], v29, v19
	v_addc_co_u32_e64 v20, s[2:3], v30, v20, s[2:3]
	global_load_dword v23, v[19:20], off
	s_waitcnt vmcnt(0)
	v_ashrrev_i32_e32 v24, 31, v23
.LBB3_23:                               ;   in Loop: Header=BB3_20 Depth=1
	s_or_b64 exec, exec, s[26:27]
	v_cmp_lt_u64_e64 s[2:3], 1, v[21:22]
	s_mov_b64 s[42:43], 0
	s_and_saveexec_b64 s[26:27], s[2:3]
	s_cbranch_execz .LBB3_27
; %bb.24:                               ;   in Loop: Header=BB3_20 Depth=1
	v_mov_b32_e32 v19, s28
	v_mov_b32_e32 v20, s29
	s_and_saveexec_b64 s[2:3], vcc
	s_cbranch_execz .LBB3_26
; %bb.25:                               ;   in Loop: Header=BB3_20 Depth=1
	v_add_co_u32_e32 v19, vcc, -2, v21
	v_addc_co_u32_e32 v20, vcc, -1, v22, vcc
	v_lshrrev_b32_e32 v25, 31, v20
	v_add_co_u32_e32 v19, vcc, v19, v25
	v_addc_co_u32_e32 v20, vcc, 0, v20, vcc
	v_ashrrev_i64 v[19:20], 1, v[19:20]
	v_mul_lo_u32 v25, v20, s16
	v_mul_lo_u32 v26, v19, s17
	v_mad_u64_u32 v[19:20], s[42:43], v19, s16, 0
	v_add3_u32 v20, v20, v26, v25
	v_lshlrev_b64 v[19:20], 2, v[19:20]
	v_add_co_u32_e32 v19, vcc, v29, v19
	v_addc_co_u32_e32 v20, vcc, v30, v20, vcc
	global_load_dword v19, v[19:20], off
	s_waitcnt vmcnt(0)
	v_ashrrev_i32_e32 v20, 31, v19
.LBB3_26:                               ;   in Loop: Header=BB3_20 Depth=1
	s_or_b64 exec, exec, s[2:3]
	v_cmp_ne_u64_e32 vcc, v[19:20], v[23:24]
	s_and_b64 s[42:43], vcc, exec
.LBB3_27:                               ;   in Loop: Header=BB3_20 Depth=1
	s_or_b64 exec, exec, s[26:27]
	s_and_b64 s[26:27], s[42:43], exec
.LBB3_28:                               ;   in Loop: Header=BB3_20 Depth=1
	s_or_b64 exec, exec, s[40:41]
	s_andn2_b64 vcc, exec, s[34:35]
	s_cbranch_vccnz .LBB3_19
; %bb.29:                               ;   in Loop: Header=BB3_20 Depth=1
	v_mad_u64_u32 v[19:20], s[2:3], s12, v23, v[17:18]
	v_mul_lo_u32 v24, s12, v24
	v_mul_lo_u32 v23, s13, v23
	v_cmp_ge_i64_e32 vcc, s[10:11], v[21:22]
	v_cmp_ne_u64_e64 s[2:3], 0, v[21:22]
	v_mov_b32_e32 v22, v16
	v_add3_u32 v20, v23, v20, v24
	v_mov_b32_e32 v24, v14
	v_mov_b32_e32 v26, v12
	;; [unrolled: 1-line block ×3, first 2 shown]
	s_mov_b64 s[40:41], 1
	s_xor_b64 s[42:43], s[4:5], -1
	v_mov_b32_e32 v21, v15
	v_mov_b32_e32 v23, v13
	;; [unrolled: 1-line block ×4, first 2 shown]
	s_branch .LBB3_31
.LBB3_30:                               ;   in Loop: Header=BB3_31 Depth=2
	s_or_b64 exec, exec, s[46:47]
	v_mov_b32_e32 v33, s37
	v_add_co_u32_e64 v27, s[4:5], s36, v27
	v_addc_co_u32_e64 v28, s[4:5], v28, v33, s[4:5]
	v_add_co_u32_e64 v25, s[4:5], s36, v25
	v_addc_co_u32_e64 v26, s[4:5], v26, v33, s[4:5]
	;; [unrolled: 2-line block ×3, first 2 shown]
	v_add_co_u32_e64 v21, s[4:5], s36, v21
	s_add_u32 s40, s40, 1
	v_addc_co_u32_e64 v22, s[4:5], v22, v33, s[4:5]
	s_addc_u32 s41, s41, 0
	v_mov_b32_e32 v33, s9
	v_add_co_u32_e64 v19, s[4:5], s8, v19
	s_cmp_eq_u64 s[14:15], s[40:41]
	v_addc_co_u32_e64 v20, s[4:5], v20, v33, s[4:5]
	s_cbranch_scc1 .LBB3_19
.LBB3_31:                               ;   Parent Loop BB3_20 Depth=1
                                        ; =>  This Inner Loop Header: Depth=2
	v_cmp_ge_i64_e64 s[4:5], s[40:41], v[5:6]
	s_mov_b64 s[44:45], 0
	s_or_b64 s[4:5], s[42:43], s[4:5]
	s_waitcnt vmcnt(0)
	s_barrier
	s_and_saveexec_b64 s[46:47], s[4:5]
	s_xor_b64 s[4:5], exec, s[46:47]
	s_cbranch_execnz .LBB3_34
; %bb.32:                               ;   in Loop: Header=BB3_31 Depth=2
	s_or_saveexec_b64 s[46:47], s[4:5]
	v_mov_b32_e32 v33, 0xff800000
	s_xor_b64 exec, exec, s[46:47]
	s_cbranch_execnz .LBB3_35
.LBB3_33:                               ;   in Loop: Header=BB3_31 Depth=2
	s_or_b64 exec, exec, s[46:47]
	s_and_saveexec_b64 s[46:47], s[44:45]
	s_cbranch_execz .LBB3_30
	s_branch .LBB3_44
.LBB3_34:                               ;   in Loop: Header=BB3_31 Depth=2
	s_and_b64 s[44:45], vcc, exec
	s_or_saveexec_b64 s[46:47], s[4:5]
	v_mov_b32_e32 v33, 0xff800000
	s_xor_b64 exec, exec, s[46:47]
	s_cbranch_execz .LBB3_33
.LBB3_35:                               ;   in Loop: Header=BB3_31 Depth=2
	v_add_co_u32_e64 v33, s[4:5], v25, v7
	v_addc_co_u32_e64 v34, s[4:5], v26, v8, s[4:5]
	global_load_dword v33, v[33:34], off
	v_mov_b32_e32 v34, 0xff800000
	v_mov_b32_e32 v35, 0xff800000
	s_waitcnt vmcnt(0)
	v_mov_b32_e32 v36, v33
	s_and_saveexec_b64 s[48:49], s[2:3]
	s_cbranch_execz .LBB3_39
; %bb.36:                               ;   in Loop: Header=BB3_31 Depth=2
	v_add_co_u32_e64 v35, s[4:5], v21, v7
	v_addc_co_u32_e64 v36, s[4:5], v22, v8, s[4:5]
	global_load_dword v35, v[35:36], off
	v_mov_b32_e32 v36, v33
	s_waitcnt vmcnt(0)
	v_cmp_gt_f32_e64 s[4:5], v35, v33
	s_and_saveexec_b64 s[50:51], s[4:5]
; %bb.37:                               ;   in Loop: Header=BB3_31 Depth=2
	v_mov_b32_e32 v36, v35
; %bb.38:                               ;   in Loop: Header=BB3_31 Depth=2
	s_or_b64 exec, exec, s[50:51]
.LBB3_39:                               ;   in Loop: Header=BB3_31 Depth=2
	s_or_b64 exec, exec, s[48:49]
	s_and_saveexec_b64 s[48:49], s[26:27]
	s_cbranch_execz .LBB3_43
; %bb.40:                               ;   in Loop: Header=BB3_31 Depth=2
	v_add_co_u32_e64 v37, s[4:5], v23, v7
	v_addc_co_u32_e64 v38, s[4:5], v24, v8, s[4:5]
	global_load_dword v34, v[37:38], off
	s_waitcnt vmcnt(0)
	v_cmp_gt_f32_e64 s[4:5], v34, v36
	s_and_saveexec_b64 s[50:51], s[4:5]
; %bb.41:                               ;   in Loop: Header=BB3_31 Depth=2
	v_mov_b32_e32 v36, v34
; %bb.42:                               ;   in Loop: Header=BB3_31 Depth=2
	s_or_b64 exec, exec, s[50:51]
.LBB3_43:                               ;   in Loop: Header=BB3_31 Depth=2
	s_or_b64 exec, exec, s[48:49]
	global_load_dword v37, v[19:20], off
	v_cmp_neq_f32_e64 s[4:5], s52, v36
	v_cndmask_b32_e64 v36, 0, v36, s[4:5]
	v_sub_f32_e32 v33, v33, v36
	v_sub_f32_e32 v35, v35, v36
	v_mul_f32_e32 v38, 0x3fb8aa3b, v33
	v_sub_f32_e32 v34, v34, v36
	v_mul_f32_e32 v39, 0x3fb8aa3b, v35
	v_fma_f32 v41, v33, s53, -v38
	v_rndne_f32_e32 v42, v38
	v_mul_f32_e32 v40, 0x3fb8aa3b, v34
	v_fma_f32 v43, v35, s53, -v39
	v_rndne_f32_e32 v44, v39
	v_fmac_f32_e32 v41, 0x32a5705f, v33
	v_sub_f32_e32 v38, v38, v42
	v_fma_f32 v45, v34, s53, -v40
	v_rndne_f32_e32 v46, v40
	v_fmac_f32_e32 v43, 0x32a5705f, v35
	v_sub_f32_e32 v39, v39, v44
	v_add_f32_e32 v38, v38, v41
	v_cvt_i32_f32_e32 v42, v42
	v_fmac_f32_e32 v45, 0x32a5705f, v34
	v_sub_f32_e32 v40, v40, v46
	v_add_f32_e32 v39, v39, v43
	v_exp_f32_e32 v38, v38
	v_cvt_i32_f32_e32 v44, v44
	v_add_f32_e32 v40, v40, v45
	v_exp_f32_e32 v39, v39
	v_cvt_i32_f32_e32 v46, v46
	v_exp_f32_e32 v40, v40
	v_ldexp_f32 v38, v38, v42
	v_cmp_ngt_f32_e64 s[4:5], s54, v33
	v_ldexp_f32 v39, v39, v44
	v_cndmask_b32_e64 v38, 0, v38, s[4:5]
	v_cmp_ngt_f32_e64 s[4:5], s54, v35
	v_ldexp_f32 v40, v40, v46
	v_cndmask_b32_e64 v39, 0, v39, s[4:5]
	v_cmp_ngt_f32_e64 s[4:5], s54, v34
	v_cndmask_b32_e64 v40, 0, v40, s[4:5]
	v_cmp_nlt_f32_e64 s[4:5], s55, v33
	v_cndmask_b32_e64 v33, v31, v38, s[4:5]
	v_cmp_nlt_f32_e64 s[4:5], s55, v35
	v_cndmask_b32_e64 v35, v31, v39, s[4:5]
	v_cmp_nlt_f32_e64 s[4:5], s55, v34
	v_cndmask_b32_e64 v34, v31, v40, s[4:5]
	v_add_f32_e32 v33, v33, v35
	v_add_f32_e32 v33, v34, v33
	v_cmp_gt_f32_e64 s[4:5], s57, v33
	v_cndmask_b32_e64 v34, 0, 32, s[4:5]
	v_ldexp_f32 v33, v33, v34
	v_log_f32_e32 v33, v33
	v_cndmask_b32_e64 v34, 0, v32, s[4:5]
	s_or_b64 s[44:45], s[44:45], exec
	v_mul_f32_e32 v35, 0x3f317217, v33
	v_fma_f32 v35, v33, s58, -v35
	v_fmac_f32_e32 v35, 0x3377d1cf, v33
	v_fmac_f32_e32 v35, 0x3f317217, v33
	v_cmp_lt_f32_e64 s[4:5], |v33|, s56
	v_cndmask_b32_e64 v33, v33, v35, s[4:5]
	v_sub_f32_e32 v33, v33, v34
	v_add_f32_e32 v33, v36, v33
	s_waitcnt vmcnt(0)
	v_add_f32_e32 v33, v37, v33
	s_or_b64 exec, exec, s[46:47]
	s_and_saveexec_b64 s[46:47], s[44:45]
	s_cbranch_execz .LBB3_30
.LBB3_44:                               ;   in Loop: Header=BB3_31 Depth=2
	v_add_co_u32_e64 v34, s[4:5], v27, v7
	v_addc_co_u32_e64 v35, s[4:5], v28, v8, s[4:5]
	global_store_dword v[34:35], v33, off
	s_branch .LBB3_30
.LBB3_45:
	v_cmp_eq_u32_e32 vcc, 0, v0
	s_waitcnt vmcnt(0)
	s_barrier
	s_and_saveexec_b64 s[2:3], vcc
	s_cbranch_execz .LBB3_49
; %bb.46:
	v_add_co_u32_e32 v0, vcc, -1, v5
	v_addc_co_u32_e32 v5, vcc, -1, v6, vcc
	v_mul_lo_u32 v11, v5, s20
	v_mul_lo_u32 v12, v0, s21
	v_mad_u64_u32 v[9:10], s[0:1], v0, s20, 0
	v_mul_lo_u32 v0, v4, s22
	v_mul_lo_u32 v13, v3, s23
	v_mad_u64_u32 v[5:6], s[0:1], v3, s22, 0
	v_add3_u32 v10, v10, v12, v11
	v_add_co_u32_e32 v7, vcc, s24, v7
	v_add3_u32 v6, v6, v13, v0
	v_mov_b32_e32 v0, s25
	v_addc_co_u32_e32 v0, vcc, v0, v8, vcc
	v_lshlrev_b64 v[8:9], 2, v[9:10]
	v_lshlrev_b64 v[10:11], 3, v[5:6]
	v_add_co_u32_e32 v8, vcc, v7, v8
	v_addc_co_u32_e32 v9, vcc, v0, v9, vcc
	v_add_co_u32_e32 v10, vcc, v8, v10
	v_addc_co_u32_e32 v11, vcc, v9, v11, vcc
	global_load_dword v7, v[10:11], off
	v_cmp_lt_i64_e32 vcc, 0, v[3:4]
	v_mov_b32_e32 v0, 0xff800000
	s_and_saveexec_b64 s[0:1], vcc
	s_cbranch_execz .LBB3_48
; %bb.47:
	v_lshlrev_b64 v[3:4], 1, v[5:6]
	v_mov_b32_e32 v0, s23
	v_subrev_co_u32_e32 v3, vcc, s22, v3
	v_subb_co_u32_e32 v4, vcc, v4, v0, vcc
	v_lshlrev_b64 v[3:4], 2, v[3:4]
	v_add_co_u32_e32 v3, vcc, v8, v3
	v_addc_co_u32_e32 v4, vcc, v9, v4, vcc
	global_load_dword v0, v[3:4], off
.LBB3_48:
	s_or_b64 exec, exec, s[0:1]
	s_waitcnt vmcnt(0)
	v_cmp_gt_f32_e32 vcc, v7, v0
	v_cndmask_b32_e32 v3, v0, v7, vcc
	s_mov_b32 s0, 0xff800000
	v_cmp_neq_f32_e32 vcc, s0, v3
	v_cndmask_b32_e32 v3, 0, v3, vcc
	v_sub_f32_e32 v4, v7, v3
	s_mov_b32 s0, 0x3fb8aa3b
	v_mul_f32_e32 v5, 0x3fb8aa3b, v4
	v_fma_f32 v6, v4, s0, -v5
	v_rndne_f32_e32 v7, v5
	v_fmac_f32_e32 v6, 0x32a5705f, v4
	v_sub_f32_e32 v5, v5, v7
	v_add_f32_e32 v5, v5, v6
	v_exp_f32_e32 v5, v5
	v_cvt_i32_f32_e32 v6, v7
	v_sub_f32_e32 v0, v0, v3
	s_mov_b32 s1, 0xc2ce8ed0
	v_cmp_ngt_f32_e32 vcc, s1, v4
	v_ldexp_f32 v5, v5, v6
	v_mul_f32_e32 v6, 0x3fb8aa3b, v0
	v_fma_f32 v7, v0, s0, -v6
	v_rndne_f32_e32 v8, v6
	v_fmac_f32_e32 v7, 0x32a5705f, v0
	v_sub_f32_e32 v6, v6, v8
	v_add_f32_e32 v6, v6, v7
	v_exp_f32_e32 v6, v6
	v_cvt_i32_f32_e32 v7, v8
	s_mov_b32 s4, 0x42b17218
	v_cndmask_b32_e32 v5, 0, v5, vcc
	v_mov_b32_e32 v8, 0x7f800000
	v_cmp_nlt_f32_e32 vcc, s4, v4
	v_cndmask_b32_e32 v4, v8, v5, vcc
	v_ldexp_f32 v5, v6, v7
	v_cmp_ngt_f32_e32 vcc, s1, v0
	v_cndmask_b32_e32 v5, 0, v5, vcc
	v_cmp_nlt_f32_e32 vcc, s4, v0
	v_cndmask_b32_e32 v0, v8, v5, vcc
	v_add_f32_e32 v0, v4, v0
	s_mov_b32 s0, 0x800000
	v_cmp_gt_f32_e32 vcc, s0, v0
	v_cndmask_b32_e64 v4, 0, 32, vcc
	v_ldexp_f32 v0, v0, v4
	v_log_f32_e32 v0, v0
	s_mov_b32 s1, 0x3f317217
	s_mov_b32 s0, 0x7f800000
	v_mul_f32_e32 v4, 0x3f317217, v0
	v_fma_f32 v4, v0, s1, -v4
	v_fmac_f32_e32 v4, 0x3377d1cf, v0
	v_fmac_f32_e32 v4, 0x3f317217, v0
	v_cmp_lt_f32_e64 s[0:1], |v0|, s0
	v_cndmask_b32_e64 v0, v0, v4, s[0:1]
	v_mov_b32_e32 v4, 0x41b17218
	v_cndmask_b32_e32 v4, 0, v4, vcc
	v_sub_f32_e32 v0, v0, v4
	v_add_f32_e32 v0, v3, v0
	v_xor_b32_e32 v3, 0x80000000, v0
	v_lshlrev_b64 v[0:1], 2, v[1:2]
	v_mov_b32_e32 v2, s7
	v_add_co_u32_e32 v0, vcc, s6, v0
	v_addc_co_u32_e32 v1, vcc, v2, v1, vcc
	global_store_dword v[0:1], v3, off
.LBB3_49:
	s_or_b64 exec, exec, s[2:3]
                                        ; implicit-def: $vgpr0
                                        ; implicit-def: $vgpr1_vgpr2
                                        ; implicit-def: $vgpr3_vgpr4
.LBB3_50:
	s_andn2_saveexec_b64 s[0:1], s[18:19]
	s_cbranch_execz .LBB3_53
; %bb.51:
	v_cmp_eq_u32_e32 vcc, 0, v0
	s_and_b64 exec, exec, vcc
	s_cbranch_execz .LBB3_53
; %bb.52:
	v_lshlrev_b64 v[0:1], 2, v[1:2]
	v_mov_b32_e32 v2, s7
	v_add_co_u32_e32 v0, vcc, s6, v0
	v_addc_co_u32_e32 v1, vcc, v2, v1, vcc
	s_waitcnt vmcnt(0)
	v_cmp_eq_u64_e32 vcc, 0, v[3:4]
	v_mov_b32_e32 v2, 0x7f800000
	v_bfrev_b32_e32 v5, 1
	v_cndmask_b32_e32 v2, v2, v5, vcc
	global_store_dword v[0:1], v2, off
.LBB3_53:
	s_endpgm
	.section	.rodata,"a",@progbits
	.p2align	6, 0x0
	.amdhsa_kernel _ZN2at6native12_GLOBAL__N_129ctc_loss_log_alpha_gpu_kernelIfiEEvPT_PKS3_PKllPKT0_S8_lS4_llllllS8_lll
		.amdhsa_group_segment_fixed_size 0
		.amdhsa_private_segment_fixed_size 0
		.amdhsa_kernarg_size 400
		.amdhsa_user_sgpr_count 6
		.amdhsa_user_sgpr_private_segment_buffer 1
		.amdhsa_user_sgpr_dispatch_ptr 0
		.amdhsa_user_sgpr_queue_ptr 0
		.amdhsa_user_sgpr_kernarg_segment_ptr 1
		.amdhsa_user_sgpr_dispatch_id 0
		.amdhsa_user_sgpr_flat_scratch_init 0
		.amdhsa_user_sgpr_private_segment_size 0
		.amdhsa_uses_dynamic_stack 0
		.amdhsa_system_sgpr_private_segment_wavefront_offset 0
		.amdhsa_system_sgpr_workgroup_id_x 1
		.amdhsa_system_sgpr_workgroup_id_y 1
		.amdhsa_system_sgpr_workgroup_id_z 0
		.amdhsa_system_sgpr_workgroup_info 0
		.amdhsa_system_vgpr_workitem_id 1
		.amdhsa_next_free_vgpr 47
		.amdhsa_next_free_sgpr 59
		.amdhsa_reserve_vcc 1
		.amdhsa_reserve_flat_scratch 0
		.amdhsa_float_round_mode_32 0
		.amdhsa_float_round_mode_16_64 0
		.amdhsa_float_denorm_mode_32 3
		.amdhsa_float_denorm_mode_16_64 3
		.amdhsa_dx10_clamp 1
		.amdhsa_ieee_mode 1
		.amdhsa_fp16_overflow 0
		.amdhsa_exception_fp_ieee_invalid_op 0
		.amdhsa_exception_fp_denorm_src 0
		.amdhsa_exception_fp_ieee_div_zero 0
		.amdhsa_exception_fp_ieee_overflow 0
		.amdhsa_exception_fp_ieee_underflow 0
		.amdhsa_exception_fp_ieee_inexact 0
		.amdhsa_exception_int_div_zero 0
	.end_amdhsa_kernel
	.section	.text._ZN2at6native12_GLOBAL__N_129ctc_loss_log_alpha_gpu_kernelIfiEEvPT_PKS3_PKllPKT0_S8_lS4_llllllS8_lll,"axG",@progbits,_ZN2at6native12_GLOBAL__N_129ctc_loss_log_alpha_gpu_kernelIfiEEvPT_PKS3_PKllPKT0_S8_lS4_llllllS8_lll,comdat
.Lfunc_end3:
	.size	_ZN2at6native12_GLOBAL__N_129ctc_loss_log_alpha_gpu_kernelIfiEEvPT_PKS3_PKllPKT0_S8_lS4_llllllS8_lll, .Lfunc_end3-_ZN2at6native12_GLOBAL__N_129ctc_loss_log_alpha_gpu_kernelIfiEEvPT_PKS3_PKllPKT0_S8_lS4_llllllS8_lll
                                        ; -- End function
	.set _ZN2at6native12_GLOBAL__N_129ctc_loss_log_alpha_gpu_kernelIfiEEvPT_PKS3_PKllPKT0_S8_lS4_llllllS8_lll.num_vgpr, 47
	.set _ZN2at6native12_GLOBAL__N_129ctc_loss_log_alpha_gpu_kernelIfiEEvPT_PKS3_PKllPKT0_S8_lS4_llllllS8_lll.num_agpr, 0
	.set _ZN2at6native12_GLOBAL__N_129ctc_loss_log_alpha_gpu_kernelIfiEEvPT_PKS3_PKllPKT0_S8_lS4_llllllS8_lll.numbered_sgpr, 59
	.set _ZN2at6native12_GLOBAL__N_129ctc_loss_log_alpha_gpu_kernelIfiEEvPT_PKS3_PKllPKT0_S8_lS4_llllllS8_lll.num_named_barrier, 0
	.set _ZN2at6native12_GLOBAL__N_129ctc_loss_log_alpha_gpu_kernelIfiEEvPT_PKS3_PKllPKT0_S8_lS4_llllllS8_lll.private_seg_size, 0
	.set _ZN2at6native12_GLOBAL__N_129ctc_loss_log_alpha_gpu_kernelIfiEEvPT_PKS3_PKllPKT0_S8_lS4_llllllS8_lll.uses_vcc, 1
	.set _ZN2at6native12_GLOBAL__N_129ctc_loss_log_alpha_gpu_kernelIfiEEvPT_PKS3_PKllPKT0_S8_lS4_llllllS8_lll.uses_flat_scratch, 0
	.set _ZN2at6native12_GLOBAL__N_129ctc_loss_log_alpha_gpu_kernelIfiEEvPT_PKS3_PKllPKT0_S8_lS4_llllllS8_lll.has_dyn_sized_stack, 0
	.set _ZN2at6native12_GLOBAL__N_129ctc_loss_log_alpha_gpu_kernelIfiEEvPT_PKS3_PKllPKT0_S8_lS4_llllllS8_lll.has_recursion, 0
	.set _ZN2at6native12_GLOBAL__N_129ctc_loss_log_alpha_gpu_kernelIfiEEvPT_PKS3_PKllPKT0_S8_lS4_llllllS8_lll.has_indirect_call, 0
	.section	.AMDGPU.csdata,"",@progbits
; Kernel info:
; codeLenInByte = 3124
; TotalNumSgprs: 63
; NumVgprs: 47
; ScratchSize: 0
; MemoryBound: 0
; FloatMode: 240
; IeeeMode: 1
; LDSByteSize: 0 bytes/workgroup (compile time only)
; SGPRBlocks: 7
; VGPRBlocks: 11
; NumSGPRsForWavesPerEU: 63
; NumVGPRsForWavesPerEU: 47
; Occupancy: 5
; WaveLimiterHint : 1
; COMPUTE_PGM_RSRC2:SCRATCH_EN: 0
; COMPUTE_PGM_RSRC2:USER_SGPR: 6
; COMPUTE_PGM_RSRC2:TRAP_HANDLER: 0
; COMPUTE_PGM_RSRC2:TGID_X_EN: 1
; COMPUTE_PGM_RSRC2:TGID_Y_EN: 1
; COMPUTE_PGM_RSRC2:TGID_Z_EN: 0
; COMPUTE_PGM_RSRC2:TIDIG_COMP_CNT: 1
	.section	.text._ZN2at6native12_GLOBAL__N_137ctc_loss_backward_log_beta_gpu_kernelIdlEEvPT_PKS3_PKllPKT0_S8_lllllllS8_lll,"axG",@progbits,_ZN2at6native12_GLOBAL__N_137ctc_loss_backward_log_beta_gpu_kernelIdlEEvPT_PKS3_PKllPKT0_S8_lllllllS8_lll,comdat
	.globl	_ZN2at6native12_GLOBAL__N_137ctc_loss_backward_log_beta_gpu_kernelIdlEEvPT_PKS3_PKllPKT0_S8_lllllllS8_lll ; -- Begin function _ZN2at6native12_GLOBAL__N_137ctc_loss_backward_log_beta_gpu_kernelIdlEEvPT_PKS3_PKllPKT0_S8_lllllllS8_lll
	.p2align	8
	.type	_ZN2at6native12_GLOBAL__N_137ctc_loss_backward_log_beta_gpu_kernelIdlEEvPT_PKS3_PKllPKT0_S8_lllllllS8_lll,@function
_ZN2at6native12_GLOBAL__N_137ctc_loss_backward_log_beta_gpu_kernelIdlEEvPT_PKS3_PKllPKT0_S8_lllllllS8_lll: ; @_ZN2at6native12_GLOBAL__N_137ctc_loss_backward_log_beta_gpu_kernelIdlEEvPT_PKS3_PKllPKT0_S8_lllllllS8_lll
; %bb.0:
	s_load_dword s2, s[4:5], 0x94
	s_load_dwordx4 s[24:27], s[4:5], 0x70
	s_add_u32 s0, s4, 0x88
	s_addc_u32 s1, s5, 0
	v_mov_b32_e32 v10, 0
	s_waitcnt lgkmcnt(0)
	s_lshr_b32 s2, s2, 16
	s_mul_i32 s7, s7, s2
	v_add_u32_e32 v9, s7, v1
	v_cmp_gt_i64_e32 vcc, s[26:27], v[9:10]
	s_and_saveexec_b64 s[2:3], vcc
	s_cbranch_execz .LBB4_43
; %bb.1:
	s_load_dwordx2 s[2:3], s[4:5], 0x10
	v_lshlrev_b64 v[3:4], 3, v[9:10]
	s_waitcnt lgkmcnt(0)
	v_mov_b32_e32 v2, s3
	v_add_co_u32_e32 v1, vcc, s2, v3
	v_addc_co_u32_e32 v2, vcc, v2, v4, vcc
	global_load_dwordx2 v[1:2], v[1:2], off
	s_waitcnt vmcnt(0)
	v_cmp_ne_u64_e32 vcc, 0, v[1:2]
	s_and_b64 exec, exec, vcc
	s_cbranch_execz .LBB4_43
; %bb.2:
	s_load_dwordx2 s[2:3], s[4:5], 0x28
	s_load_dwordx2 s[6:7], s[4:5], 0x68
	s_waitcnt lgkmcnt(0)
	v_mov_b32_e32 v6, s3
	v_add_co_u32_e32 v5, vcc, s2, v3
	v_addc_co_u32_e32 v6, vcc, v6, v4, vcc
	global_load_dwordx2 v[11:12], v[5:6], off
	v_mov_b32_e32 v5, s7
	v_add_co_u32_e32 v3, vcc, s6, v3
	v_addc_co_u32_e32 v4, vcc, v5, v4, vcc
	global_load_dwordx2 v[3:4], v[3:4], off
	s_load_dwordx8 s[8:15], s[4:5], 0x30
	s_load_dword s2, s[0:1], 0xc
	s_mov_b32 s0, 0
	s_waitcnt lgkmcnt(0)
	s_lshl_b64 s[26:27], s[8:9], 1
	s_and_b32 s33, s2, 0xffff
	s_mov_b32 s1, s27
	s_cmp_lg_u64 s[0:1], 0
	s_cbranch_scc0 .LBB4_44
; %bb.3:
	s_add_u32 s0, s33, 0
	s_addc_u32 s1, 0, 0
	s_xor_b64 s[2:3], s[0:1], 0
	v_cvt_f32_u32_e32 v5, s2
	v_cvt_f32_u32_e32 v6, s3
	s_sub_u32 s8, 0, s2
	s_subb_u32 s9, 0, s3
	v_madmk_f32 v5, v6, 0x4f800000, v5
	v_rcp_f32_e32 v5, v5
	v_mul_f32_e32 v5, 0x5f7ffffc, v5
	v_mul_f32_e32 v6, 0x2f800000, v5
	v_trunc_f32_e32 v6, v6
	v_madmk_f32 v5, v6, 0xcf800000, v5
	v_cvt_u32_f32_e32 v6, v6
	v_cvt_u32_f32_e32 v5, v5
	v_readfirstlane_b32 s16, v6
	v_readfirstlane_b32 s6, v5
	s_mul_i32 s7, s8, s16
	s_mul_hi_u32 s18, s8, s6
	s_mul_i32 s17, s9, s6
	s_add_i32 s7, s18, s7
	s_add_i32 s7, s7, s17
	s_mul_i32 s19, s8, s6
	s_mul_i32 s18, s6, s7
	s_mul_hi_u32 s20, s6, s19
	s_mul_hi_u32 s17, s6, s7
	s_add_u32 s18, s20, s18
	s_addc_u32 s17, 0, s17
	s_mul_hi_u32 s21, s16, s19
	s_mul_i32 s19, s16, s19
	s_add_u32 s18, s18, s19
	s_mul_hi_u32 s20, s16, s7
	s_addc_u32 s17, s17, s21
	s_addc_u32 s18, s20, 0
	s_mul_i32 s7, s16, s7
	s_add_u32 s7, s17, s7
	s_addc_u32 s17, 0, s18
	s_add_u32 s18, s6, s7
	s_cselect_b64 s[6:7], -1, 0
	s_cmp_lg_u64 s[6:7], 0
	s_addc_u32 s16, s16, s17
	s_mul_i32 s6, s8, s16
	s_mul_hi_u32 s7, s8, s18
	s_add_i32 s6, s7, s6
	s_mul_i32 s9, s9, s18
	s_add_i32 s6, s6, s9
	s_mul_i32 s8, s8, s18
	s_mul_hi_u32 s9, s16, s8
	s_mul_i32 s17, s16, s8
	s_mul_i32 s20, s18, s6
	s_mul_hi_u32 s8, s18, s8
	s_mul_hi_u32 s19, s18, s6
	s_add_u32 s8, s8, s20
	s_addc_u32 s19, 0, s19
	s_add_u32 s8, s8, s17
	s_mul_hi_u32 s7, s16, s6
	s_addc_u32 s8, s19, s9
	s_addc_u32 s7, s7, 0
	s_mul_i32 s6, s16, s6
	s_add_u32 s6, s8, s6
	s_addc_u32 s8, 0, s7
	s_add_u32 s17, s18, s6
	s_cselect_b64 s[6:7], -1, 0
	s_cmp_lg_u64 s[6:7], 0
	s_addc_u32 s16, s16, s8
	s_ashr_i32 s6, s27, 31
	s_add_u32 s8, s26, s6
	s_mov_b32 s7, s6
	s_addc_u32 s9, s27, s6
	s_xor_b64 s[8:9], s[8:9], s[6:7]
	s_mul_i32 s19, s8, s16
	s_mul_hi_u32 s20, s8, s17
	s_mul_hi_u32 s18, s8, s16
	s_add_u32 s19, s20, s19
	s_addc_u32 s18, 0, s18
	s_mul_hi_u32 s21, s9, s17
	s_mul_i32 s17, s9, s17
	s_add_u32 s17, s19, s17
	s_mul_hi_u32 s20, s9, s16
	s_addc_u32 s17, s18, s21
	s_addc_u32 s18, s20, 0
	s_mul_i32 s16, s9, s16
	s_add_u32 s16, s17, s16
	s_addc_u32 s17, 0, s18
	s_mul_i32 s17, s2, s17
	s_mul_hi_u32 s18, s2, s16
	s_add_i32 s17, s18, s17
	s_mul_i32 s18, s3, s16
	s_add_i32 s20, s17, s18
	s_sub_i32 s18, s9, s20
	s_mul_i32 s16, s2, s16
	s_sub_u32 s8, s8, s16
	s_cselect_b64 s[16:17], -1, 0
	s_cmp_lg_u64 s[16:17], 0
	s_subb_u32 s21, s18, s3
	s_sub_u32 s22, s8, s2
	s_cselect_b64 s[18:19], -1, 0
	s_cmp_lg_u64 s[18:19], 0
	s_subb_u32 s23, s21, 0
	s_cmp_ge_u32 s23, s3
	s_cselect_b32 s28, -1, 0
	s_cmp_ge_u32 s22, s2
	s_cselect_b32 s29, -1, 0
	s_cmp_eq_u32 s23, s3
	s_cselect_b32 s28, s29, s28
	s_cmp_lg_u64 s[18:19], 0
	s_subb_u32 s21, s21, s3
	s_sub_u32 s29, s22, s2
	s_cselect_b64 s[18:19], -1, 0
	s_cmp_lg_u64 s[18:19], 0
	s_subb_u32 s18, s21, 0
	s_cmp_lg_u32 s28, 0
	s_cselect_b32 s19, s29, s22
	s_cselect_b32 s18, s18, s23
	s_cmp_lg_u64 s[16:17], 0
	s_subb_u32 s9, s9, s20
	s_cmp_ge_u32 s9, s3
	s_cselect_b32 s16, -1, 0
	s_cmp_ge_u32 s8, s2
	s_cselect_b32 s2, -1, 0
	s_cmp_eq_u32 s9, s3
	s_cselect_b32 s2, s2, s16
	s_cmp_lg_u32 s2, 0
	s_cselect_b32 s3, s18, s9
	s_cselect_b32 s2, s19, s8
	s_xor_b64 s[2:3], s[2:3], s[6:7]
	s_sub_u32 s8, s2, s6
	s_subb_u32 s9, s3, s6
	s_cbranch_execnz .LBB4_5
.LBB4_4:
	v_cvt_f32_u32_e32 v5, s33
	s_sub_i32 s0, 0, s33
	s_mov_b32 s9, 0
	v_rcp_iflag_f32_e32 v5, v5
	v_mul_f32_e32 v5, 0x4f7ffffe, v5
	v_cvt_u32_f32_e32 v5, v5
	v_readfirstlane_b32 s1, v5
	s_mul_i32 s0, s0, s1
	s_mul_hi_u32 s0, s1, s0
	s_add_i32 s1, s1, s0
	s_mul_hi_u32 s0, s26, s1
	s_mul_i32 s0, s0, s33
	s_sub_i32 s0, s26, s0
	s_sub_i32 s1, s0, s33
	s_cmp_ge_u32 s0, s33
	s_cselect_b32 s0, s1, s0
	s_sub_i32 s1, s0, s33
	s_cmp_ge_u32 s0, s33
	s_cselect_b32 s8, s1, s0
.LBB4_5:
	s_sub_u32 s34, s26, s8
	s_subb_u32 s35, s27, s9
	v_cmp_lt_i64_e64 s[0:1], s[34:35], 0
	s_and_b64 vcc, exec, s[0:1]
	s_cbranch_vccnz .LBB4_43
; %bb.6:
	v_mad_u64_u32 v[7:8], s[0:1], s12, v9, 0
	s_load_dwordx2 s[0:1], s[4:5], 0x20
	s_load_dwordx4 s[28:31], s[4:5], 0x0
	v_mov_b32_e32 v5, v8
	v_mad_u64_u32 v[5:6], s[2:3], s13, v9, v[5:6]
	s_waitcnt vmcnt(0)
	v_lshlrev_b64 v[13:14], 3, v[3:4]
	v_add_co_u32_e32 v3, vcc, -1, v1
	v_addc_co_u32_e32 v4, vcc, -1, v2, vcc
	v_mul_lo_u32 v10, v4, s10
	v_mul_lo_u32 v17, v3, s11
	v_mad_u64_u32 v[15:16], s[2:3], v3, s10, 0
	v_mov_b32_e32 v8, v5
	s_waitcnt lgkmcnt(0)
	v_mov_b32_e32 v6, s1
	v_add_co_u32_e32 v43, vcc, s0, v13
	v_lshlrev_b64 v[19:20], 3, v[7:8]
	v_addc_co_u32_e32 v44, vcc, v6, v14, vcc
	v_lshlrev_b64 v[5:6], 1, v[11:12]
	v_add3_u32 v16, v16, v17, v10
	v_mov_b32_e32 v7, s31
	v_add_co_u32_e32 v10, vcc, s30, v19
	v_addc_co_u32_e32 v17, vcc, v7, v20, vcc
	v_add_co_u32_e32 v7, vcc, -1, v5
	v_addc_co_u32_e32 v8, vcc, -1, v6, vcc
	v_lshlrev_b64 v[13:14], 3, v[15:16]
	v_lshrrev_b32_e32 v15, 1, v8
	v_mul_lo_u32 v18, v15, s24
	v_alignbit_b32 v15, v8, v7, 1
	s_load_dwordx8 s[16:23], s[4:5], 0x50
	v_mul_lo_u32 v21, v15, s25
	v_mad_u64_u32 v[15:16], s[0:1], v15, s24, 0
	v_add_co_u32_e32 v32, vcc, v10, v13
	v_add3_u32 v16, v16, v21, v18
	s_waitcnt lgkmcnt(0)
	v_mad_u64_u32 v[21:22], s[0:1], s16, v9, 0
	v_addc_co_u32_e32 v33, vcc, v17, v14, vcc
	v_lshlrev_b64 v[13:14], 3, v[15:16]
	v_mov_b32_e32 v10, s27
	v_add_co_u32_e32 v15, vcc, s26, v0
	v_addc_co_u32_e32 v31, vcc, 0, v10, vcc
	v_mov_b32_e32 v10, s9
	v_subrev_co_u32_e64 v15, s[6:7], s8, v15
	v_subb_co_u32_e64 v16, vcc, v31, v10, s[6:7]
	v_mov_b32_e32 v10, v22
	v_mad_u64_u32 v[9:10], s[0:1], s17, v9, v[10:11]
	v_mul_lo_u32 v25, s21, v15
	v_mul_lo_u32 v26, s20, v16
	v_mad_u64_u32 v[17:18], s[0:1], s20, v15, 0
	v_mul_lo_u32 v10, s19, v3
	v_mul_lo_u32 v22, s18, v4
	v_mad_u64_u32 v[23:24], s[0:1], s18, v3, 0
	v_add3_u32 v18, v18, v26, v25
	v_add_co_u32_e32 v13, vcc, v43, v13
	v_add3_u32 v24, v24, v22, v10
	v_mov_b32_e32 v22, v9
	v_lshlrev_b64 v[17:18], 3, v[17:18]
	v_lshlrev_b64 v[9:10], 3, v[23:24]
	s_load_dwordx2 s[12:13], s[4:5], 0x80
	v_addc_co_u32_e32 v14, vcc, v44, v14, vcc
	v_add_co_u32_e32 v23, vcc, v17, v9
	v_addc_co_u32_e32 v24, vcc, v18, v10, vcc
	v_lshlrev_b64 v[9:10], 3, v[21:22]
	s_waitcnt lgkmcnt(0)
	s_mul_i32 s0, s12, s15
	v_add_co_u32_e32 v21, vcc, v23, v9
	s_mul_hi_u32 s1, s12, s14
	v_addc_co_u32_e32 v22, vcc, v24, v10, vcc
	s_add_i32 s0, s1, s0
	s_mul_i32 s1, s13, s14
	v_mov_b32_e32 v23, s29
	v_add_co_u32_e32 v21, vcc, s28, v21
	s_add_i32 s1, s0, s1
	s_mul_i32 s0, s12, s14
	v_addc_co_u32_e32 v22, vcc, v23, v22, vcc
	s_lshl_b64 s[0:1], s[0:1], 3
	v_mov_b32_e32 v24, s1
	v_add_co_u32_e32 v23, vcc, s0, v32
	v_addc_co_u32_e32 v24, vcc, v33, v24, vcc
	s_mul_i32 s0, s21, s33
	s_mul_hi_u32 s1, s20, s33
	s_add_i32 s1, s1, s0
	s_mul_i32 s0, s20, s33
	v_sub_co_u32_e32 v25, vcc, v5, v0
	s_lshl_b64 s[0:1], s[0:1], 3
	v_subbrev_co_u32_e32 v26, vcc, 0, v6, vcc
	s_sub_u32 s90, 0, s0
	v_add_co_u32_e32 v27, vcc, -1, v25
	s_subb_u32 s91, 0, s1
	v_addc_co_u32_e32 v28, vcc, -1, v26, vcc
	s_mov_b64 s[0:1], s[34:35]
	s_branch .LBB4_8
.LBB4_7:                                ;   in Loop: Header=BB4_8 Depth=1
	s_or_b64 exec, exec, s[2:3]
	s_sub_u32 s0, s0, s33
	s_subb_u32 s1, s1, 0
	s_waitcnt vmcnt(0)
	v_mov_b32_e32 v29, s91
	v_cmp_lt_i64_e64 s[2:3], s[0:1], 0
	v_add_co_u32_e32 v21, vcc, s90, v21
	v_addc_co_u32_e32 v22, vcc, v22, v29, vcc
	s_and_b64 vcc, exec, s[2:3]
	s_cbranch_vccnz .LBB4_16
.LBB4_8:                                ; =>This Inner Loop Header: Depth=1
	v_cmp_ne_u64_e32 vcc, s[0:1], v[25:26]
                                        ; implicit-def: $vgpr29_vgpr30
	s_and_saveexec_b64 s[2:3], vcc
	s_xor_b64 s[2:3], exec, s[2:3]
	s_cbranch_execz .LBB4_12
; %bb.9:                                ;   in Loop: Header=BB4_8 Depth=1
	v_cmp_eq_u64_e32 vcc, s[0:1], v[27:28]
	v_mov_b32_e32 v29, 0
	v_mov_b32_e32 v30, 0xfff00000
	s_and_saveexec_b64 s[16:17], vcc
	s_cbranch_execz .LBB4_11
; %bb.10:                               ;   in Loop: Header=BB4_8 Depth=1
	global_load_dwordx2 v[29:30], v[13:14], off
	s_waitcnt vmcnt(0)
	v_mul_lo_u32 v34, v30, s14
	v_mul_lo_u32 v35, v29, s15
	v_mad_u64_u32 v[29:30], s[22:23], v29, s14, 0
	v_add3_u32 v30, v30, v35, v34
	v_lshlrev_b64 v[29:30], 3, v[29:30]
	v_add_co_u32_e32 v29, vcc, v32, v29
	v_addc_co_u32_e32 v30, vcc, v33, v30, vcc
	global_load_dwordx2 v[29:30], v[29:30], off
.LBB4_11:                               ;   in Loop: Header=BB4_8 Depth=1
	s_or_b64 exec, exec, s[16:17]
.LBB4_12:                               ;   in Loop: Header=BB4_8 Depth=1
	s_andn2_saveexec_b64 s[2:3], s[2:3]
	s_cbranch_execz .LBB4_14
; %bb.13:                               ;   in Loop: Header=BB4_8 Depth=1
	global_load_dwordx2 v[29:30], v[23:24], off
.LBB4_14:                               ;   in Loop: Header=BB4_8 Depth=1
	s_or_b64 exec, exec, s[2:3]
	v_mov_b32_e32 v35, s1
	v_add_co_u32_e32 v34, vcc, s0, v0
	v_addc_co_u32_e32 v35, vcc, 0, v35, vcc
	v_cmp_ge_i64_e32 vcc, s[26:27], v[34:35]
	s_and_saveexec_b64 s[2:3], vcc
	s_cbranch_execz .LBB4_7
; %bb.15:                               ;   in Loop: Header=BB4_8 Depth=1
	s_waitcnt vmcnt(0)
	global_store_dwordx2 v[21:22], v[29:30], off
	s_branch .LBB4_7
.LBB4_16:
	s_load_dwordx2 s[2:3], s[4:5], 0x18
	v_cmp_ne_u64_e64 s[4:5], 0, v[11:12]
                                        ; implicit-def: $vgpr58 : SGPR spill to VGPR lane
	v_cmp_lt_i64_e64 s[0:1], 0, v[11:12]
	v_writelane_b32 v58, s4, 0
	v_writelane_b32 v58, s5, 1
	s_waitcnt lgkmcnt(0)
	s_add_u32 s16, s2, -2
	s_addc_u32 s17, s3, -1
	s_mul_hi_u32 s4, s18, s16
	s_mul_i32 s5, s18, s17
	s_add_i32 s4, s4, s5
	s_mul_i32 s5, s19, s16
	s_add_i32 s5, s4, s5
	s_mul_i32 s4, s18, s16
	s_lshl_b64 s[4:5], s[4:5], 3
	s_add_u32 s8, s28, s4
	s_addc_u32 s4, s29, s5
	v_mov_b32_e32 v14, s4
	s_lshl_b64 s[4:5], s[18:19], 3
	s_sub_u32 s92, 0, s4
	s_subb_u32 s93, 0, s5
	v_cmp_gt_i64_e64 s[22:23], s[2:3], 1
	s_add_u32 s2, s2, -1
	s_addc_u32 s3, s3, -1
	s_mul_i32 s3, s18, s3
	s_mul_hi_u32 s4, s18, s2
	s_add_i32 s3, s4, s3
	s_mul_i32 s4, s19, s2
	s_add_i32 s3, s3, s4
	s_mul_i32 s2, s18, s2
	s_lshl_b64 s[2:3], s[2:3], 3
	v_lshlrev_b64 v[11:12], 3, v[15:16]
	s_add_u32 s2, s28, s2
	v_add_co_u32_e32 v13, vcc, 8, v11
	s_addc_u32 s3, s29, s3
	v_addc_co_u32_e32 v16, vcc, 0, v12, vcc
	v_mov_b32_e32 v12, s3
	v_mov_b32_e32 v11, s2
	v_mad_u64_u32 v[11:12], s[4:5], s20, v13, v[11:12]
	v_mul_lo_u32 v16, s20, v16
	v_mul_lo_u32 v21, s21, v13
	v_add_co_u32_e32 v13, vcc, s8, v17
	v_addc_co_u32_e32 v14, vcc, v14, v18, vcc
	v_add3_u32 v12, v21, v12, v16
	v_mov_b32_e32 v21, s9
	v_subb_co_u32_e64 v21, vcc, v31, v21, s[6:7]
	v_add_co_u32_e32 v15, vcc, 2, v15
	v_addc_co_u32_e32 v21, vcc, 0, v21, vcc
	v_mul_lo_u32 v23, s21, v15
	v_mul_lo_u32 v24, s20, v21
	v_mad_u64_u32 v[21:22], s[4:5], s20, v15, 0
	v_mov_b32_e32 v16, s3
	v_add_co_u32_e32 v15, vcc, s2, v17
	v_add3_u32 v22, v22, v24, v23
	v_addc_co_u32_e32 v16, vcc, v16, v18, vcc
	v_lshlrev_b64 v[17:18], 3, v[21:22]
	v_mov_b32_e32 v21, s3
	v_add_co_u32_e32 v17, vcc, s2, v17
	s_mul_i32 s2, s10, s17
	s_mul_hi_u32 s3, s10, s16
	s_add_i32 s2, s3, s2
	s_mul_i32 s3, s11, s16
	s_add_i32 s3, s2, s3
	s_mul_i32 s2, s10, s16
	s_lshl_b64 s[2:3], s[2:3], 3
	s_add_u32 s2, s30, s2
	v_addc_co_u32_e32 v18, vcc, v21, v18, vcc
	s_addc_u32 s3, s31, s3
	v_mov_b32_e32 v21, s3
	v_add_co_u32_e32 v19, vcc, s2, v19
	s_lshl_b64 s[14:15], s[14:15], 3
	s_lshl_b64 s[2:3], s[10:11], 3
	s_sub_u32 s94, 0, s2
	s_mov_b32 s10, 0
	s_mov_b32 s18, 0x652b82fe
	;; [unrolled: 1-line block ×22, first 2 shown]
	v_addc_co_u32_e32 v20, vcc, v21, v20, vcc
	s_subb_u32 s95, 0, s3
	s_mov_b32 s11, 0xfff00000
	s_mov_b32 s19, 0x3ff71547
	;; [unrolled: 1-line block ×25, first 2 shown]
	s_movk_i32 s2, 0x204
	v_mov_b32_e32 v45, 0x7ff00000
	v_mov_b32_e32 v21, 0x6b47b09a
	v_mov_b32_e32 v22, 0x3fc38538
	v_mov_b32_e32 v46, 0x7ff80000
	v_mov_b32_e32 v47, 0xfff00000
	s_branch .LBB4_18
.LBB4_17:                               ;   in Loop: Header=BB4_18 Depth=1
	v_mov_b32_e32 v23, s91
	v_add_co_u32_e32 v13, vcc, s90, v13
	v_addc_co_u32_e32 v14, vcc, v14, v23, vcc
	v_add_co_u32_e32 v11, vcc, s90, v11
	v_addc_co_u32_e32 v12, vcc, v12, v23, vcc
	s_sub_u32 s34, s34, s33
	v_add_co_u32_e32 v15, vcc, s90, v15
	s_subb_u32 s35, s35, 0
	v_addc_co_u32_e32 v16, vcc, v16, v23, vcc
	v_cmp_lt_i64_e64 s[4:5], s[34:35], 0
	v_add_co_u32_e32 v17, vcc, s90, v17
	v_addc_co_u32_e32 v18, vcc, v18, v23, vcc
	s_and_b64 vcc, exec, s[4:5]
	s_cbranch_vccnz .LBB4_43
.LBB4_18:                               ; =>This Loop Header: Depth=1
                                        ;     Child Loop BB4_29 Depth 2
	v_mov_b32_e32 v23, s35
	v_add_co_u32_e32 v25, vcc, s34, v0
	v_addc_co_u32_e32 v26, vcc, 0, v23, vcc
	v_cmp_le_i64_e64 s[6:7], v[25:26], v[5:6]
	s_waitcnt vmcnt(0)
	v_mov_b32_e32 v28, s13
	s_and_b64 s[4:5], s[0:1], s[6:7]
	v_mov_b32_e32 v27, s12
	s_mov_b64 s[76:77], 0
	s_and_saveexec_b64 s[8:9], s[4:5]
	s_cbranch_execz .LBB4_26
; %bb.19:                               ;   in Loop: Header=BB4_18 Depth=1
	v_and_b32_e32 v23, 1, v25
	v_mov_b32_e32 v28, s13
	v_cmp_eq_u32_e32 vcc, 1, v23
	v_mov_b32_e32 v27, s12
	s_and_saveexec_b64 s[76:77], vcc
	s_cbranch_execz .LBB4_21
; %bb.20:                               ;   in Loop: Header=BB4_18 Depth=1
	v_alignbit_b32 v23, v26, v25, 1
	v_lshrrev_b32_e32 v28, 1, v26
	v_mul_lo_u32 v27, v23, s25
	v_mad_u64_u32 v[23:24], s[4:5], v23, s24, 0
	v_mul_lo_u32 v28, v28, s24
	v_add3_u32 v24, v24, v27, v28
	v_lshlrev_b64 v[23:24], 3, v[23:24]
	v_add_co_u32_e64 v23, s[4:5], v43, v23
	v_addc_co_u32_e64 v24, s[4:5], v44, v24, s[4:5]
	global_load_dwordx2 v[27:28], v[23:24], off
.LBB4_21:                               ;   in Loop: Header=BB4_18 Depth=1
	s_or_b64 exec, exec, s[76:77]
	v_cmp_lt_i64_e64 s[4:5], v[25:26], v[7:8]
	s_mov_b64 s[78:79], 0
	s_and_saveexec_b64 s[76:77], s[4:5]
	s_cbranch_execz .LBB4_25
; %bb.22:                               ;   in Loop: Header=BB4_18 Depth=1
	v_mov_b32_e32 v24, s13
	v_mov_b32_e32 v23, s12
	s_and_saveexec_b64 s[4:5], vcc
	s_cbranch_execz .LBB4_24
; %bb.23:                               ;   in Loop: Header=BB4_18 Depth=1
	v_add_co_u32_e32 v23, vcc, 2, v25
	v_addc_co_u32_e32 v29, vcc, 0, v26, vcc
	v_alignbit_b32 v23, v29, v23, 1
	v_lshrrev_b32_e32 v29, 1, v29
	v_mul_lo_u32 v30, v23, s25
	v_mad_u64_u32 v[23:24], s[78:79], v23, s24, 0
	v_mul_lo_u32 v29, v29, s24
	v_add3_u32 v24, v24, v30, v29
	v_lshlrev_b64 v[23:24], 3, v[23:24]
	v_add_co_u32_e32 v23, vcc, v43, v23
	v_addc_co_u32_e32 v24, vcc, v44, v24, vcc
	global_load_dwordx2 v[23:24], v[23:24], off
.LBB4_24:                               ;   in Loop: Header=BB4_18 Depth=1
	s_or_b64 exec, exec, s[4:5]
	s_waitcnt vmcnt(0)
	v_cmp_ne_u64_e32 vcc, v[23:24], v[27:28]
	s_and_b64 s[78:79], vcc, exec
.LBB4_25:                               ;   in Loop: Header=BB4_18 Depth=1
	s_or_b64 exec, exec, s[76:77]
	s_and_b64 s[76:77], s[78:79], exec
.LBB4_26:                               ;   in Loop: Header=BB4_18 Depth=1
	s_or_b64 exec, exec, s[8:9]
	s_andn2_b64 vcc, exec, s[22:23]
	s_cbranch_vccnz .LBB4_17
; %bb.27:                               ;   in Loop: Header=BB4_18 Depth=1
	s_waitcnt vmcnt(0)
	v_mad_u64_u32 v[23:24], s[8:9], s14, v27, v[19:20]
	v_mul_lo_u32 v28, s14, v28
	v_mul_lo_u32 v27, s15, v27
	v_cmp_gt_i64_e64 s[4:5], 1, v[25:26]
	v_readlane_b32 s8, v58, 0
	v_readlane_b32 s9, v58, 1
	v_cmp_lt_i64_e32 vcc, s[26:27], v[25:26]
	s_or_b64 s[8:9], s[8:9], s[4:5]
	v_cmp_lt_i64_e64 s[4:5], v[25:26], v[5:6]
	v_add3_u32 v24, v27, v24, v28
	v_mov_b32_e32 v26, v18
	v_mov_b32_e32 v28, v16
	;; [unrolled: 1-line block ×4, first 2 shown]
	s_and_b64 s[78:79], s[8:9], s[6:7]
	s_xor_b64 s[80:81], s[6:7], -1
	v_mov_b32_e32 v25, v17
	v_mov_b32_e32 v27, v15
	;; [unrolled: 1-line block ×4, first 2 shown]
	s_mov_b64 s[82:83], s[16:17]
	s_branch .LBB4_29
.LBB4_28:                               ;   in Loop: Header=BB4_29 Depth=2
	s_or_b64 exec, exec, s[8:9]
	v_mov_b32_e32 v33, s93
	v_add_co_u32_e64 v31, s[6:7], s92, v31
	v_addc_co_u32_e64 v32, s[6:7], v32, v33, s[6:7]
	v_add_co_u32_e64 v29, s[6:7], s92, v29
	v_addc_co_u32_e64 v30, s[6:7], v30, v33, s[6:7]
	v_add_co_u32_e64 v27, s[6:7], s92, v27
	v_addc_co_u32_e64 v28, s[6:7], v28, v33, s[6:7]
	v_add_co_u32_e64 v25, s[6:7], s92, v25
	s_add_u32 s82, s82, -1
	v_addc_co_u32_e64 v26, s[6:7], v26, v33, s[6:7]
	s_addc_u32 s83, s83, -1
	v_mov_b32_e32 v33, s95
	v_add_co_u32_e64 v23, s[6:7], s94, v23
	s_cmp_eq_u64 s[82:83], -1
	v_addc_co_u32_e64 v24, s[6:7], v24, v33, s[6:7]
	s_cbranch_scc1 .LBB4_17
.LBB4_29:                               ;   Parent Loop BB4_18 Depth=1
                                        ; =>  This Inner Loop Header: Depth=2
	v_cmp_ge_i64_e64 s[6:7], s[82:83], v[3:4]
	s_mov_b64 s[84:85], 0
	s_or_b64 s[6:7], s[80:81], s[6:7]
	s_waitcnt vmcnt(0)
	s_barrier
	s_and_saveexec_b64 s[8:9], s[6:7]
	s_xor_b64 s[8:9], exec, s[8:9]
; %bb.30:                               ;   in Loop: Header=BB4_29 Depth=2
	v_cmp_lt_i64_e64 s[6:7], s[82:83], v[1:2]
	s_and_b64 s[6:7], s[6:7], s[78:79]
	s_nor_b64 s[6:7], vcc, s[6:7]
	s_and_b64 s[84:85], s[6:7], exec
; %bb.31:                               ;   in Loop: Header=BB4_29 Depth=2
	s_or_saveexec_b64 s[86:87], s[8:9]
	v_mov_b32_e32 v33, 0
	v_mov_b32_e32 v34, 0xfff00000
	s_xor_b64 exec, exec, s[86:87]
	s_cbranch_execz .LBB4_41
; %bb.32:                               ;   in Loop: Header=BB4_29 Depth=2
	v_add_co_u32_e64 v33, s[6:7], v27, v9
	v_addc_co_u32_e64 v34, s[6:7], v28, v10, s[6:7]
	global_load_dwordx2 v[39:40], v[33:34], off
	v_mov_b32_e32 v35, 0
	v_mov_b32_e32 v37, 0
	v_mov_b32_e32 v36, 0xfff00000
	v_mov_b32_e32 v38, 0xfff00000
	s_waitcnt vmcnt(0)
	v_mov_b32_e32 v33, v39
	v_mov_b32_e32 v34, v40
	s_and_saveexec_b64 s[8:9], s[4:5]
	s_cbranch_execz .LBB4_36
; %bb.33:                               ;   in Loop: Header=BB4_29 Depth=2
	v_add_co_u32_e64 v33, s[6:7], v29, v9
	v_addc_co_u32_e64 v34, s[6:7], v30, v10, s[6:7]
	global_load_dwordx2 v[37:38], v[33:34], off
	v_mov_b32_e32 v33, v39
	v_mov_b32_e32 v34, v40
	s_waitcnt vmcnt(0)
	v_cmp_gt_f64_e64 s[6:7], v[37:38], v[39:40]
	s_and_saveexec_b64 s[88:89], s[6:7]
; %bb.34:                               ;   in Loop: Header=BB4_29 Depth=2
	v_mov_b32_e32 v33, v37
	v_mov_b32_e32 v34, v38
; %bb.35:                               ;   in Loop: Header=BB4_29 Depth=2
	s_or_b64 exec, exec, s[88:89]
.LBB4_36:                               ;   in Loop: Header=BB4_29 Depth=2
	s_or_b64 exec, exec, s[8:9]
	s_and_saveexec_b64 s[8:9], s[76:77]
	s_cbranch_execz .LBB4_40
; %bb.37:                               ;   in Loop: Header=BB4_29 Depth=2
	v_add_co_u32_e64 v35, s[6:7], v25, v9
	v_addc_co_u32_e64 v36, s[6:7], v26, v10, s[6:7]
	global_load_dwordx2 v[35:36], v[35:36], off
	s_waitcnt vmcnt(0)
	v_cmp_gt_f64_e64 s[6:7], v[35:36], v[33:34]
	s_and_saveexec_b64 s[88:89], s[6:7]
; %bb.38:                               ;   in Loop: Header=BB4_29 Depth=2
	v_mov_b32_e32 v33, v35
	v_mov_b32_e32 v34, v36
; %bb.39:                               ;   in Loop: Header=BB4_29 Depth=2
	s_or_b64 exec, exec, s[88:89]
.LBB4_40:                               ;   in Loop: Header=BB4_29 Depth=2
	s_or_b64 exec, exec, s[8:9]
	v_cmp_neq_f64_e64 s[6:7], s[10:11], v[33:34]
	s_mov_b32 s71, s59
	s_mov_b32 s72, s20
	;; [unrolled: 1-line block ×3, first 2 shown]
	s_or_b64 s[84:85], s[84:85], exec
	v_cndmask_b32_e64 v34, 0, v34, s[6:7]
	v_cndmask_b32_e64 v33, 0, v33, s[6:7]
	v_add_f64 v[41:42], v[39:40], -v[33:34]
	v_add_f64 v[37:38], v[37:38], -v[33:34]
	;; [unrolled: 1-line block ×3, first 2 shown]
	v_mul_f64 v[39:40], v[41:42], s[18:19]
	v_cmp_nlt_f64_e64 s[6:7], s[54:55], v[41:42]
	v_cmp_ngt_f64_e64 s[8:9], s[56:57], v[41:42]
	v_rndne_f64_e32 v[48:49], v[39:40]
	v_fma_f64 v[39:40], v[48:49], s[20:21], v[41:42]
	v_fma_f64 v[50:51], v[48:49], s[28:29], v[39:40]
	v_mov_b32_e32 v40, s31
	v_mov_b32_e32 v39, s30
	v_cvt_i32_f64_e32 v48, v[48:49]
	v_fma_f64 v[52:53], v[50:51], s[36:37], v[39:40]
	v_fma_f64 v[52:53], v[50:51], v[52:53], s[38:39]
	;; [unrolled: 1-line block ×9, first 2 shown]
	v_fma_f64 v[52:53], v[50:51], v[52:53], 1.0
	v_fma_f64 v[50:51], v[50:51], v[52:53], 1.0
	v_ldexp_f64 v[48:49], v[50:51], v48
	v_cndmask_b32_e64 v49, v45, v49, s[6:7]
	s_and_b64 s[6:7], s[8:9], s[6:7]
	v_cndmask_b32_e64 v41, 0, v48, s[6:7]
	v_cndmask_b32_e64 v42, 0, v49, s[8:9]
	v_mul_f64 v[48:49], v[37:38], s[18:19]
	v_cmp_nlt_f64_e64 s[6:7], s[54:55], v[37:38]
	v_cmp_ngt_f64_e64 s[8:9], s[56:57], v[37:38]
	v_rndne_f64_e32 v[48:49], v[48:49]
	v_fma_f64 v[50:51], v[48:49], s[20:21], v[37:38]
	v_fma_f64 v[50:51], v[48:49], s[28:29], v[50:51]
	v_cvt_i32_f64_e32 v48, v[48:49]
	v_fma_f64 v[52:53], v[50:51], s[36:37], v[39:40]
	v_fma_f64 v[52:53], v[50:51], v[52:53], s[38:39]
	;; [unrolled: 1-line block ×9, first 2 shown]
	v_fma_f64 v[52:53], v[50:51], v[52:53], 1.0
	v_fma_f64 v[50:51], v[50:51], v[52:53], 1.0
	v_ldexp_f64 v[48:49], v[50:51], v48
	v_cndmask_b32_e64 v49, v45, v49, s[6:7]
	s_and_b64 s[6:7], s[8:9], s[6:7]
	v_cndmask_b32_e64 v37, 0, v48, s[6:7]
	v_cndmask_b32_e64 v38, 0, v49, s[8:9]
	v_add_f64 v[37:38], v[41:42], v[37:38]
	v_mul_f64 v[41:42], v[35:36], s[18:19]
	v_cmp_nlt_f64_e64 s[6:7], s[54:55], v[35:36]
	v_cmp_ngt_f64_e64 s[8:9], s[56:57], v[35:36]
	v_rndne_f64_e32 v[41:42], v[41:42]
	v_fma_f64 v[48:49], v[41:42], s[20:21], v[35:36]
	v_fma_f64 v[48:49], v[41:42], s[28:29], v[48:49]
	v_cvt_i32_f64_e32 v41, v[41:42]
	v_fma_f64 v[39:40], v[48:49], s[36:37], v[39:40]
	v_fma_f64 v[39:40], v[48:49], v[39:40], s[38:39]
	;; [unrolled: 1-line block ×9, first 2 shown]
	v_fma_f64 v[39:40], v[48:49], v[39:40], 1.0
	v_fma_f64 v[39:40], v[48:49], v[39:40], 1.0
	v_ldexp_f64 v[39:40], v[39:40], v41
	v_cndmask_b32_e64 v40, v45, v40, s[6:7]
	s_and_b64 s[6:7], s[8:9], s[6:7]
	v_cndmask_b32_e64 v35, 0, v39, s[6:7]
	v_cndmask_b32_e64 v36, 0, v40, s[8:9]
	v_add_f64 v[35:36], v[35:36], v[37:38]
	v_frexp_mant_f64_e32 v[37:38], v[35:36]
	v_frexp_exp_i32_f64_e32 v40, v[35:36]
	v_cmp_gt_f64_e64 s[6:7], s[58:59], v[37:38]
	v_cndmask_b32_e64 v39, 0, 1, s[6:7]
	v_ldexp_f64 v[38:39], v[37:38], v39
	v_subbrev_co_u32_e64 v37, s[6:7], 0, v40, s[6:7]
	v_cmp_class_f64_e64 s[6:7], v[35:36], s2
	v_add_f64 v[48:49], v[38:39], 1.0
	v_add_f64 v[40:41], v[38:39], -1.0
	v_add_f64 v[50:51], v[48:49], -1.0
	v_add_f64 v[38:39], v[38:39], -v[50:51]
	v_rcp_f64_e32 v[50:51], v[48:49]
	v_fma_f64 v[52:53], -v[48:49], v[50:51], 1.0
	v_fma_f64 v[50:51], v[52:53], v[50:51], v[50:51]
	v_fma_f64 v[52:53], -v[48:49], v[50:51], 1.0
	v_fma_f64 v[50:51], v[52:53], v[50:51], v[50:51]
	v_mul_f64 v[52:53], v[40:41], v[50:51]
	v_mul_f64 v[54:55], v[48:49], v[52:53]
	v_fma_f64 v[48:49], v[52:53], v[48:49], -v[54:55]
	v_fma_f64 v[38:39], v[52:53], v[38:39], v[48:49]
	v_add_f64 v[48:49], v[54:55], v[38:39]
	v_add_f64 v[56:57], v[40:41], -v[48:49]
	v_add_f64 v[54:55], v[48:49], -v[54:55]
	;; [unrolled: 1-line block ×5, first 2 shown]
	v_add_f64 v[38:39], v[38:39], v[40:41]
	v_add_f64 v[38:39], v[56:57], v[38:39]
	v_mul_f64 v[38:39], v[50:51], v[38:39]
	v_add_f64 v[40:41], v[52:53], v[38:39]
	v_add_f64 v[48:49], v[40:41], -v[52:53]
	v_ldexp_f64 v[52:53], v[40:41], 1
	v_add_f64 v[38:39], v[38:39], -v[48:49]
	v_mul_f64 v[48:49], v[40:41], v[40:41]
	v_ldexp_f64 v[38:39], v[38:39], 1
	v_fma_f64 v[50:51], v[48:49], s[60:61], v[21:22]
	v_mul_f64 v[40:41], v[40:41], v[48:49]
	v_fma_f64 v[50:51], v[48:49], v[50:51], s[62:63]
	v_fma_f64 v[50:51], v[48:49], v[50:51], s[64:65]
	v_fma_f64 v[50:51], v[48:49], v[50:51], s[66:67]
	v_fma_f64 v[50:51], v[48:49], v[50:51], s[68:69]
	v_fma_f64 v[50:51], v[48:49], v[50:51], s[70:71]
	v_mul_f64 v[40:41], v[40:41], v[50:51]
	v_add_f64 v[48:49], v[52:53], v[40:41]
	v_add_f64 v[50:51], v[48:49], -v[52:53]
	v_add_f64 v[40:41], v[40:41], -v[50:51]
	v_add_f64 v[38:39], v[38:39], v[40:41]
	v_add_f64 v[40:41], v[48:49], v[38:39]
	v_add_f64 v[48:49], v[40:41], -v[48:49]
	v_add_f64 v[38:39], v[38:39], -v[48:49]
	v_cvt_f64_i32_e32 v[48:49], v37
	v_mul_f64 v[50:51], v[48:49], s[72:73]
	v_fma_f64 v[52:53], v[48:49], s[72:73], -v[50:51]
	v_fma_f64 v[48:49], v[48:49], s[74:75], v[52:53]
	v_add_f64 v[52:53], v[50:51], v[48:49]
	v_add_f64 v[50:51], v[52:53], -v[50:51]
	v_add_f64 v[48:49], v[48:49], -v[50:51]
	v_add_f64 v[50:51], v[52:53], v[40:41]
	v_add_f64 v[54:55], v[50:51], -v[52:53]
	v_add_f64 v[56:57], v[50:51], -v[54:55]
	;; [unrolled: 1-line block ×4, first 2 shown]
	v_add_f64 v[40:41], v[40:41], v[52:53]
	v_add_f64 v[52:53], v[48:49], v[38:39]
	v_add_f64 v[54:55], v[52:53], -v[48:49]
	v_add_f64 v[56:57], v[52:53], -v[54:55]
	;; [unrolled: 1-line block ×3, first 2 shown]
	v_add_f64 v[39:40], v[52:53], v[40:41]
	v_add_f64 v[48:49], v[48:49], -v[56:57]
	v_add_f64 v[41:42], v[50:51], v[39:40]
	v_add_f64 v[37:38], v[37:38], v[48:49]
	v_add_f64 v[48:49], v[41:42], -v[50:51]
	v_add_f64 v[39:40], v[39:40], -v[48:49]
	v_add_f64 v[37:38], v[37:38], v[39:40]
	v_add_f64 v[37:38], v[41:42], v[37:38]
	v_cndmask_b32_e64 v37, v37, v35, s[6:7]
	v_cndmask_b32_e64 v38, v38, v36, s[6:7]
	v_cmp_ngt_f64_e64 s[6:7], 0, v[35:36]
	v_cndmask_b32_e64 v38, v46, v38, s[6:7]
	v_cmp_nge_f64_e64 s[6:7], 0, v[35:36]
	v_cndmask_b32_e64 v37, 0, v37, s[6:7]
	v_cmp_neq_f64_e64 s[6:7], 0, v[35:36]
	global_load_dwordx2 v[35:36], v[23:24], off
	v_cndmask_b32_e64 v38, v47, v38, s[6:7]
	v_add_f64 v[33:34], v[33:34], v[37:38]
	s_waitcnt vmcnt(0)
	v_add_f64 v[33:34], v[35:36], v[33:34]
.LBB4_41:                               ;   in Loop: Header=BB4_29 Depth=2
	s_or_b64 exec, exec, s[86:87]
	s_and_saveexec_b64 s[8:9], s[84:85]
	s_cbranch_execz .LBB4_28
; %bb.42:                               ;   in Loop: Header=BB4_29 Depth=2
	v_add_co_u32_e64 v35, s[6:7], v31, v9
	v_addc_co_u32_e64 v36, s[6:7], v32, v10, s[6:7]
	global_store_dwordx2 v[35:36], v[33:34], off
	s_branch .LBB4_28
.LBB4_43:
	s_endpgm
.LBB4_44:
                                        ; implicit-def: $sgpr8_sgpr9
	s_branch .LBB4_4
	.section	.rodata,"a",@progbits
	.p2align	6, 0x0
	.amdhsa_kernel _ZN2at6native12_GLOBAL__N_137ctc_loss_backward_log_beta_gpu_kernelIdlEEvPT_PKS3_PKllPKT0_S8_lllllllS8_lll
		.amdhsa_group_segment_fixed_size 0
		.amdhsa_private_segment_fixed_size 0
		.amdhsa_kernarg_size 392
		.amdhsa_user_sgpr_count 6
		.amdhsa_user_sgpr_private_segment_buffer 1
		.amdhsa_user_sgpr_dispatch_ptr 0
		.amdhsa_user_sgpr_queue_ptr 0
		.amdhsa_user_sgpr_kernarg_segment_ptr 1
		.amdhsa_user_sgpr_dispatch_id 0
		.amdhsa_user_sgpr_flat_scratch_init 0
		.amdhsa_user_sgpr_private_segment_size 0
		.amdhsa_uses_dynamic_stack 0
		.amdhsa_system_sgpr_private_segment_wavefront_offset 0
		.amdhsa_system_sgpr_workgroup_id_x 1
		.amdhsa_system_sgpr_workgroup_id_y 1
		.amdhsa_system_sgpr_workgroup_id_z 0
		.amdhsa_system_sgpr_workgroup_info 0
		.amdhsa_system_vgpr_workitem_id 1
		.amdhsa_next_free_vgpr 59
		.amdhsa_next_free_sgpr 96
		.amdhsa_reserve_vcc 1
		.amdhsa_reserve_flat_scratch 0
		.amdhsa_float_round_mode_32 0
		.amdhsa_float_round_mode_16_64 0
		.amdhsa_float_denorm_mode_32 3
		.amdhsa_float_denorm_mode_16_64 3
		.amdhsa_dx10_clamp 1
		.amdhsa_ieee_mode 1
		.amdhsa_fp16_overflow 0
		.amdhsa_exception_fp_ieee_invalid_op 0
		.amdhsa_exception_fp_denorm_src 0
		.amdhsa_exception_fp_ieee_div_zero 0
		.amdhsa_exception_fp_ieee_overflow 0
		.amdhsa_exception_fp_ieee_underflow 0
		.amdhsa_exception_fp_ieee_inexact 0
		.amdhsa_exception_int_div_zero 0
	.end_amdhsa_kernel
	.section	.text._ZN2at6native12_GLOBAL__N_137ctc_loss_backward_log_beta_gpu_kernelIdlEEvPT_PKS3_PKllPKT0_S8_lllllllS8_lll,"axG",@progbits,_ZN2at6native12_GLOBAL__N_137ctc_loss_backward_log_beta_gpu_kernelIdlEEvPT_PKS3_PKllPKT0_S8_lllllllS8_lll,comdat
.Lfunc_end4:
	.size	_ZN2at6native12_GLOBAL__N_137ctc_loss_backward_log_beta_gpu_kernelIdlEEvPT_PKS3_PKllPKT0_S8_lllllllS8_lll, .Lfunc_end4-_ZN2at6native12_GLOBAL__N_137ctc_loss_backward_log_beta_gpu_kernelIdlEEvPT_PKS3_PKllPKT0_S8_lllllllS8_lll
                                        ; -- End function
	.set _ZN2at6native12_GLOBAL__N_137ctc_loss_backward_log_beta_gpu_kernelIdlEEvPT_PKS3_PKllPKT0_S8_lllllllS8_lll.num_vgpr, 59
	.set _ZN2at6native12_GLOBAL__N_137ctc_loss_backward_log_beta_gpu_kernelIdlEEvPT_PKS3_PKllPKT0_S8_lllllllS8_lll.num_agpr, 0
	.set _ZN2at6native12_GLOBAL__N_137ctc_loss_backward_log_beta_gpu_kernelIdlEEvPT_PKS3_PKllPKT0_S8_lllllllS8_lll.numbered_sgpr, 96
	.set _ZN2at6native12_GLOBAL__N_137ctc_loss_backward_log_beta_gpu_kernelIdlEEvPT_PKS3_PKllPKT0_S8_lllllllS8_lll.num_named_barrier, 0
	.set _ZN2at6native12_GLOBAL__N_137ctc_loss_backward_log_beta_gpu_kernelIdlEEvPT_PKS3_PKllPKT0_S8_lllllllS8_lll.private_seg_size, 0
	.set _ZN2at6native12_GLOBAL__N_137ctc_loss_backward_log_beta_gpu_kernelIdlEEvPT_PKS3_PKllPKT0_S8_lllllllS8_lll.uses_vcc, 1
	.set _ZN2at6native12_GLOBAL__N_137ctc_loss_backward_log_beta_gpu_kernelIdlEEvPT_PKS3_PKllPKT0_S8_lllllllS8_lll.uses_flat_scratch, 0
	.set _ZN2at6native12_GLOBAL__N_137ctc_loss_backward_log_beta_gpu_kernelIdlEEvPT_PKS3_PKllPKT0_S8_lllllllS8_lll.has_dyn_sized_stack, 0
	.set _ZN2at6native12_GLOBAL__N_137ctc_loss_backward_log_beta_gpu_kernelIdlEEvPT_PKS3_PKllPKT0_S8_lllllllS8_lll.has_recursion, 0
	.set _ZN2at6native12_GLOBAL__N_137ctc_loss_backward_log_beta_gpu_kernelIdlEEvPT_PKS3_PKllPKT0_S8_lllllllS8_lll.has_indirect_call, 0
	.section	.AMDGPU.csdata,"",@progbits
; Kernel info:
; codeLenInByte = 4560
; TotalNumSgprs: 100
; NumVgprs: 59
; ScratchSize: 0
; MemoryBound: 0
; FloatMode: 240
; IeeeMode: 1
; LDSByteSize: 0 bytes/workgroup (compile time only)
; SGPRBlocks: 12
; VGPRBlocks: 14
; NumSGPRsForWavesPerEU: 100
; NumVGPRsForWavesPerEU: 59
; Occupancy: 4
; WaveLimiterHint : 1
; COMPUTE_PGM_RSRC2:SCRATCH_EN: 0
; COMPUTE_PGM_RSRC2:USER_SGPR: 6
; COMPUTE_PGM_RSRC2:TRAP_HANDLER: 0
; COMPUTE_PGM_RSRC2:TGID_X_EN: 1
; COMPUTE_PGM_RSRC2:TGID_Y_EN: 1
; COMPUTE_PGM_RSRC2:TGID_Z_EN: 0
; COMPUTE_PGM_RSRC2:TIDIG_COMP_CNT: 1
	.section	.text._ZN2at6native12_GLOBAL__N_145ctc_loss_backward_collect_nonblank_gpu_kernelIdlEEvPT_PKS3_lS6_S6_S6_PKlPKT0_S8_S6_llllllllllllS8_llb,"axG",@progbits,_ZN2at6native12_GLOBAL__N_145ctc_loss_backward_collect_nonblank_gpu_kernelIdlEEvPT_PKS3_lS6_S6_S6_PKlPKT0_S8_S6_llllllllllllS8_llb,comdat
	.globl	_ZN2at6native12_GLOBAL__N_145ctc_loss_backward_collect_nonblank_gpu_kernelIdlEEvPT_PKS3_lS6_S6_S6_PKlPKT0_S8_S6_llllllllllllS8_llb ; -- Begin function _ZN2at6native12_GLOBAL__N_145ctc_loss_backward_collect_nonblank_gpu_kernelIdlEEvPT_PKS3_lS6_S6_S6_PKlPKT0_S8_S6_llllllllllllS8_llb
	.p2align	8
	.type	_ZN2at6native12_GLOBAL__N_145ctc_loss_backward_collect_nonblank_gpu_kernelIdlEEvPT_PKS3_lS6_S6_S6_PKlPKT0_S8_S6_llllllllllllS8_llb,@function
_ZN2at6native12_GLOBAL__N_145ctc_loss_backward_collect_nonblank_gpu_kernelIdlEEvPT_PKS3_lS6_S6_S6_PKlPKT0_S8_S6_llllllllllllS8_llb: ; @_ZN2at6native12_GLOBAL__N_145ctc_loss_backward_collect_nonblank_gpu_kernelIdlEEvPT_PKS3_lS6_S6_S6_PKlPKT0_S8_S6_llllllllllllS8_llb
; %bb.0:
	s_load_dword s0, s[4:5], 0xdc
	s_load_dwordx4 s[24:27], s[4:5], 0xb8
	v_mov_b32_e32 v3, 0
	s_waitcnt lgkmcnt(0)
	s_lshr_b32 s1, s0, 16
	s_mul_i32 s7, s7, s1
	v_add_u32_e32 v2, s7, v1
	v_cmp_gt_i64_e32 vcc, s[26:27], v[2:3]
	s_and_saveexec_b64 s[2:3], vcc
	s_cbranch_execz .LBB5_7
; %bb.1:
	s_load_dwordx2 s[2:3], s[4:5], 0x40
	v_lshlrev_b64 v[10:11], 3, v[2:3]
	s_and_b32 s0, s0, 0xffff
	s_waitcnt lgkmcnt(0)
	v_mov_b32_e32 v1, s3
	v_add_co_u32_e32 v4, vcc, s2, v10
	v_addc_co_u32_e32 v5, vcc, v1, v11, vcc
	global_load_dwordx2 v[4:5], v[4:5], off
	v_mov_b32_e32 v1, v3
	v_mov_b32_e32 v3, s6
	v_mad_u64_u32 v[8:9], s[0:1], s0, v3, v[0:1]
	s_waitcnt vmcnt(0)
	v_cmp_lt_i64_e32 vcc, v[8:9], v[4:5]
	s_and_b64 exec, exec, vcc
	s_cbranch_execz .LBB5_7
; %bb.2:
	s_load_dwordx2 s[0:1], s[4:5], 0x48
	s_load_dword s6, s[4:5], 0xc8
	s_load_dwordx2 s[2:3], s[4:5], 0x30
	s_waitcnt lgkmcnt(0)
	v_mov_b32_e32 v1, s1
	v_add_co_u32_e32 v0, vcc, s0, v10
	v_addc_co_u32_e32 v1, vcc, v1, v11, vcc
	global_load_dwordx2 v[4:5], v[0:1], off
	v_mov_b32_e32 v1, s3
	v_add_co_u32_e32 v0, vcc, s2, v10
	v_addc_co_u32_e32 v1, vcc, v1, v11, vcc
	global_load_dwordx2 v[6:7], v[0:1], off
	s_mov_b32 s0, 0
	s_mov_b32 s1, 0x7ff00000
	s_bitcmp1_b32 s6, 0
	s_mov_b64 s[6:7], 0
	s_waitcnt vmcnt(1)
	v_cmp_neq_f64_e32 vcc, s[0:1], v[4:5]
	s_cselect_b64 s[0:1], -1, 0
	s_xor_b64 s[2:3], s[0:1], -1
	s_waitcnt vmcnt(0)
	v_cmp_lt_i64_e64 s[0:1], 0, v[6:7]
	s_or_b64 s[2:3], s[2:3], vcc
	s_and_b64 s[0:1], s[2:3], s[0:1]
	s_and_b64 exec, exec, s[0:1]
	s_cbranch_execz .LBB5_7
; %bb.3:
	s_load_dwordx2 s[0:1], s[4:5], 0xb0
	v_mul_lo_u32 v3, v9, s24
	v_mul_lo_u32 v12, v8, s25
	s_mov_b32 s34, 0x14761f6e
	s_mov_b32 s48, 0x555502a1
	s_waitcnt lgkmcnt(0)
	v_mov_b32_e32 v1, s1
	v_add_co_u32_e32 v0, vcc, s0, v10
	v_addc_co_u32_e32 v1, vcc, v1, v11, vcc
	global_load_dwordx2 v[0:1], v[0:1], off
	s_load_dwordx8 s[36:43], s[4:5], 0x0
	s_load_dwordx16 s[8:23], s[4:5], 0x50
	v_mad_u64_u32 v[10:11], s[0:1], v8, s24, 0
	v_lshlrev_b64 v[8:9], 1, v[8:9]
	s_waitcnt lgkmcnt(0)
	v_mad_u64_u32 v[14:15], s[2:3], s40, v2, 0
	v_add3_u32 v11, v11, v12, v3
	s_load_dwordx8 s[24:31], s[4:5], 0x90
	s_load_dwordx2 s[0:1], s[4:5], 0x38
	s_load_dwordx4 s[44:47], s[4:5], 0x20
	v_mov_b32_e32 v3, v15
	v_mad_u64_u32 v[21:22], s[2:3], s41, v2, v[3:4]
	v_or_b32_e32 v18, 1, v8
	s_waitcnt lgkmcnt(0)
	v_mul_lo_u32 v23, v9, s24
	v_mul_lo_u32 v24, v18, s25
	v_mad_u64_u32 v[12:13], s[2:3], v18, s24, 0
	v_mov_b32_e32 v15, v21
	v_lshlrev_b64 v[14:15], 3, v[14:15]
	v_mov_b32_e32 v8, s39
	v_add3_u32 v13, v13, v24, v23
	v_add_co_u32_e32 v24, vcc, s38, v14
	v_mad_u64_u32 v[16:17], s[2:3], s16, v2, 0
	v_mad_u64_u32 v[22:23], s[2:3], s20, v2, 0
	v_addc_co_u32_e32 v25, vcc, v8, v15, vcc
	v_mad_u64_u32 v[19:20], s[2:3], s10, v2, 0
	v_mov_b32_e32 v26, s1
	v_lshlrev_b64 v[10:11], 3, v[10:11]
	v_mov_b32_e32 v3, v20
	s_mov_b32 s4, 0x652b82fe
	s_mov_b32 s24, 0x623fde64
	;; [unrolled: 1-line block ×12, first 2 shown]
	s_waitcnt vmcnt(0)
	v_lshlrev_b64 v[0:1], 3, v[0:1]
	v_add_co_u32_e32 v8, vcc, s0, v0
	v_mad_u64_u32 v[14:15], s[0:1], s26, v2, 0
	v_addc_co_u32_e32 v1, vcc, v26, v1, vcc
	v_add_co_u32_e32 v10, vcc, v8, v10
	v_mov_b32_e32 v0, v17
	v_addc_co_u32_e32 v11, vcc, v1, v11, vcc
	v_mov_b32_e32 v1, v23
	v_mad_u64_u32 v[26:27], s[0:1], s17, v2, v[0:1]
	v_mov_b32_e32 v0, v15
	v_mad_u64_u32 v[20:21], s[0:1], s11, v2, v[3:4]
	v_mad_u64_u32 v[27:28], s[0:1], s21, v2, v[1:2]
	;; [unrolled: 1-line block ×3, first 2 shown]
	global_load_dwordx2 v[0:1], v[10:11], off
	v_mul_lo_u32 v3, v9, s30
	global_load_dwordx2 v[8:9], v[24:25], off
	v_mov_b32_e32 v23, v27
	v_mov_b32_e32 v17, v26
	v_lshlrev_b64 v[19:20], 3, v[19:20]
	v_lshlrev_b64 v[21:22], 3, v[22:23]
	;; [unrolled: 1-line block ×3, first 2 shown]
	v_add_co_u32_e32 v23, vcc, s36, v19
	v_add_co_u32_e64 v19, s[0:1], s42, v21
	v_mov_b32_e32 v15, s47
	v_add_co_u32_e64 v21, s[2:3], s46, v10
	v_addc_co_u32_e64 v26, s[2:3], v15, v11, s[2:3]
	v_mul_lo_u32 v10, v18, s31
	v_mad_u64_u32 v[16:17], s[2:3], v18, s30, 0
	v_mov_b32_e32 v15, v2
	v_mov_b32_e32 v24, s37
	;; [unrolled: 1-line block ×3, first 2 shown]
	v_add3_u32 v17, v17, v10, v3
	v_lshlrev_b64 v[14:15], 3, v[14:15]
	v_lshlrev_b64 v[2:3], 3, v[12:13]
	;; [unrolled: 1-line block ×3, first 2 shown]
	v_addc_co_u32_e32 v24, vcc, v24, v20, vcc
	v_addc_co_u32_e64 v17, vcc, v25, v22, s[0:1]
	v_mov_b32_e32 v18, s45
	v_add_co_u32_e32 v14, vcc, s44, v14
	v_addc_co_u32_e32 v15, vcc, v18, v15, vcc
	v_add_co_u32_e32 v16, vcc, v19, v2
	v_addc_co_u32_e32 v17, vcc, v17, v3, vcc
	;; [unrolled: 2-line block ×3, first 2 shown]
	s_mov_b32 s10, 0xfefa39ef
	s_mov_b32 s16, 0x3b39803f
	s_mov_b32 s20, 0x6a5dcb37
	s_mov_b32 s26, 0x7c89e6b0
	s_mov_b32 s36, 11
	s_mov_b32 s2, 0
	s_mov_b32 s30, 0
	s_mov_b32 s11, 0xbfe62e42
	s_mov_b32 s17, 0xbc7abc9e
	s_mov_b32 s21, 0x3e5ade15
	s_mov_b32 s27, 0x3efa0199
	s_mov_b32 s37, 0x3fe00000
	s_mov_b32 s3, 0x40900000
	s_mov_b32 s31, 0xc090cc00
	v_mov_b32_e32 v10, 0xfca7ab0c
	v_mov_b32_e32 v11, 0x3e928af3
	s_waitcnt vmcnt(1)
	v_mul_lo_u32 v20, v1, s18
	v_mul_lo_u32 v22, v0, s19
	v_mad_u64_u32 v[2:3], s[0:1], v0, s18, 0
	v_mul_lo_u32 v25, v1, s12
	v_mul_lo_u32 v27, v0, s13
	v_mad_u64_u32 v[0:1], s[0:1], v0, s12, 0
	v_add3_u32 v3, v3, v22, v20
	v_lshlrev_b64 v[2:3], 3, v[2:3]
	v_add3_u32 v1, v1, v27, v25
	v_lshlrev_b64 v[0:1], 3, v[0:1]
	v_add_co_u32_e32 v20, vcc, v21, v2
	v_addc_co_u32_e32 v21, vcc, v26, v3, vcc
	v_add_co_u32_e32 v22, vcc, v23, v0
	v_addc_co_u32_e32 v23, vcc, v24, v1, vcc
	s_mov_b64 s[12:13], 0
.LBB5_4:                                ; =>This Loop Header: Depth=1
                                        ;     Child Loop BB5_5 Depth 2
	s_mul_i32 s0, s12, s23
	s_mul_hi_u32 s1, s12, s22
	s_add_i32 s0, s1, s0
	s_mul_i32 s1, s13, s22
	s_add_i32 s1, s0, s1
	s_mul_i32 s0, s12, s22
	s_lshl_b64 s[0:1], s[0:1], 3
	v_mov_b32_e32 v1, s1
	v_add_co_u32_e32 v0, vcc, s0, v16
	s_mul_i32 s0, s12, s29
	s_mul_hi_u32 s1, s12, s28
	s_add_i32 s0, s1, s0
	s_mul_i32 s1, s13, s28
	s_add_i32 s1, s0, s1
	s_mul_i32 s0, s12, s28
	v_addc_co_u32_e32 v1, vcc, v17, v1, vcc
	s_lshl_b64 s[0:1], s[0:1], 3
	v_mov_b32_e32 v3, s1
	v_add_co_u32_e32 v2, vcc, s0, v18
	v_addc_co_u32_e32 v3, vcc, v19, v3, vcc
	global_load_dwordx2 v[12:13], v[0:1], off
	global_load_dwordx2 v[14:15], v[2:3], off
	s_mul_i32 s0, s12, s15
	s_mul_hi_u32 s1, s12, s14
	s_mul_i32 s18, s13, s14
	s_add_i32 s1, s1, s0
	s_mul_i32 s0, s12, s14
	s_add_i32 s1, s1, s18
	s_lshl_b64 s[0:1], s[0:1], 3
	v_mov_b32_e32 v1, s1
	v_add_co_u32_e32 v0, vcc, s0, v20
	v_addc_co_u32_e32 v1, vcc, v21, v1, vcc
	global_load_dwordx2 v[0:1], v[0:1], off
	s_mul_i32 s1, s12, s9
	s_mul_hi_u32 s18, s12, s8
	s_mul_i32 s19, s13, s8
	s_add_i32 s1, s18, s1
	s_mul_i32 s0, s12, s8
	s_add_i32 s1, s1, s19
	s_lshl_b64 s[0:1], s[0:1], 3
	v_mov_b32_e32 v24, 0xfff00000
	v_bfrev_b32_e32 v25, 1
	s_waitcnt vmcnt(1)
	v_add_f64 v[2:3], v[12:13], v[14:15]
	v_add_f64 v[2:3], v[4:5], v[2:3]
	s_waitcnt vmcnt(0)
	v_add_f64 v[0:1], v[2:3], -v[0:1]
	v_mul_f64 v[2:3], v[0:1], s[4:5]
	v_rndne_f64_e32 v[2:3], v[2:3]
	v_fma_f64 v[12:13], v[2:3], s[10:11], v[0:1]
	v_fma_f64 v[12:13], v[2:3], s[16:17], v[12:13]
	v_cvt_i32_f64_e32 v2, v[2:3]
	v_fma_f64 v[14:15], v[12:13], s[20:21], v[10:11]
	v_fma_f64 v[14:15], v[12:13], v[14:15], s[24:25]
	;; [unrolled: 1-line block ×9, first 2 shown]
	v_fma_f64 v[14:15], v[12:13], v[14:15], 1.0
	v_fma_f64 v[12:13], v[12:13], v[14:15], 1.0
	v_ldexp_f64 v[14:15], -v[12:13], v2
	v_mov_b32_e32 v2, s1
	v_add_co_u32_e32 v12, vcc, s0, v22
	v_addc_co_u32_e32 v13, vcc, v23, v2, vcc
	global_load_dwordx2 v[2:3], v[12:13], off
	v_cmp_nlt_f64_e32 vcc, s[2:3], v[0:1]
	v_cmp_ngt_f64_e64 s[0:1], s[30:31], v[0:1]
	v_cndmask_b32_e32 v15, v24, v15, vcc
	s_and_b64 vcc, s[0:1], vcc
	v_cndmask_b32_e64 v1, v25, v15, s[0:1]
	v_cndmask_b32_e32 v0, 0, v14, vcc
	v_mul_f64 v[14:15], v[8:9], v[0:1]
	s_mov_b64 s[0:1], 0
.LBB5_5:                                ;   Parent Loop BB5_4 Depth=1
                                        ; =>  This Inner Loop Header: Depth=2
	s_waitcnt vmcnt(0)
	v_add_f64 v[0:1], v[2:3], v[14:15]
	global_atomic_cmpswap_x2 v[0:1], v[12:13], v[0:3], off glc
	s_waitcnt vmcnt(0)
	v_cmp_eq_u64_e32 vcc, v[0:1], v[2:3]
	v_mov_b32_e32 v3, v1
	s_or_b64 s[0:1], vcc, s[0:1]
	v_mov_b32_e32 v2, v0
	s_andn2_b64 exec, exec, s[0:1]
	s_cbranch_execnz .LBB5_5
; %bb.6:                                ;   in Loop: Header=BB5_4 Depth=1
	s_or_b64 exec, exec, s[0:1]
	s_add_u32 s12, s12, 1
	s_addc_u32 s13, s13, 0
	v_cmp_eq_u64_e32 vcc, s[12:13], v[6:7]
	s_or_b64 s[6:7], vcc, s[6:7]
	s_andn2_b64 exec, exec, s[6:7]
	s_cbranch_execnz .LBB5_4
.LBB5_7:
	s_endpgm
	.section	.rodata,"a",@progbits
	.p2align	6, 0x0
	.amdhsa_kernel _ZN2at6native12_GLOBAL__N_145ctc_loss_backward_collect_nonblank_gpu_kernelIdlEEvPT_PKS3_lS6_S6_S6_PKlPKT0_S8_S6_llllllllllllS8_llb
		.amdhsa_group_segment_fixed_size 0
		.amdhsa_private_segment_fixed_size 0
		.amdhsa_kernarg_size 464
		.amdhsa_user_sgpr_count 6
		.amdhsa_user_sgpr_private_segment_buffer 1
		.amdhsa_user_sgpr_dispatch_ptr 0
		.amdhsa_user_sgpr_queue_ptr 0
		.amdhsa_user_sgpr_kernarg_segment_ptr 1
		.amdhsa_user_sgpr_dispatch_id 0
		.amdhsa_user_sgpr_flat_scratch_init 0
		.amdhsa_user_sgpr_private_segment_size 0
		.amdhsa_uses_dynamic_stack 0
		.amdhsa_system_sgpr_private_segment_wavefront_offset 0
		.amdhsa_system_sgpr_workgroup_id_x 1
		.amdhsa_system_sgpr_workgroup_id_y 1
		.amdhsa_system_sgpr_workgroup_id_z 0
		.amdhsa_system_sgpr_workgroup_info 0
		.amdhsa_system_vgpr_workitem_id 1
		.amdhsa_next_free_vgpr 29
		.amdhsa_next_free_sgpr 52
		.amdhsa_reserve_vcc 1
		.amdhsa_reserve_flat_scratch 0
		.amdhsa_float_round_mode_32 0
		.amdhsa_float_round_mode_16_64 0
		.amdhsa_float_denorm_mode_32 3
		.amdhsa_float_denorm_mode_16_64 3
		.amdhsa_dx10_clamp 1
		.amdhsa_ieee_mode 1
		.amdhsa_fp16_overflow 0
		.amdhsa_exception_fp_ieee_invalid_op 0
		.amdhsa_exception_fp_denorm_src 0
		.amdhsa_exception_fp_ieee_div_zero 0
		.amdhsa_exception_fp_ieee_overflow 0
		.amdhsa_exception_fp_ieee_underflow 0
		.amdhsa_exception_fp_ieee_inexact 0
		.amdhsa_exception_int_div_zero 0
	.end_amdhsa_kernel
	.section	.text._ZN2at6native12_GLOBAL__N_145ctc_loss_backward_collect_nonblank_gpu_kernelIdlEEvPT_PKS3_lS6_S6_S6_PKlPKT0_S8_S6_llllllllllllS8_llb,"axG",@progbits,_ZN2at6native12_GLOBAL__N_145ctc_loss_backward_collect_nonblank_gpu_kernelIdlEEvPT_PKS3_lS6_S6_S6_PKlPKT0_S8_S6_llllllllllllS8_llb,comdat
.Lfunc_end5:
	.size	_ZN2at6native12_GLOBAL__N_145ctc_loss_backward_collect_nonblank_gpu_kernelIdlEEvPT_PKS3_lS6_S6_S6_PKlPKT0_S8_S6_llllllllllllS8_llb, .Lfunc_end5-_ZN2at6native12_GLOBAL__N_145ctc_loss_backward_collect_nonblank_gpu_kernelIdlEEvPT_PKS3_lS6_S6_S6_PKlPKT0_S8_S6_llllllllllllS8_llb
                                        ; -- End function
	.set _ZN2at6native12_GLOBAL__N_145ctc_loss_backward_collect_nonblank_gpu_kernelIdlEEvPT_PKS3_lS6_S6_S6_PKlPKT0_S8_S6_llllllllllllS8_llb.num_vgpr, 29
	.set _ZN2at6native12_GLOBAL__N_145ctc_loss_backward_collect_nonblank_gpu_kernelIdlEEvPT_PKS3_lS6_S6_S6_PKlPKT0_S8_S6_llllllllllllS8_llb.num_agpr, 0
	.set _ZN2at6native12_GLOBAL__N_145ctc_loss_backward_collect_nonblank_gpu_kernelIdlEEvPT_PKS3_lS6_S6_S6_PKlPKT0_S8_S6_llllllllllllS8_llb.numbered_sgpr, 52
	.set _ZN2at6native12_GLOBAL__N_145ctc_loss_backward_collect_nonblank_gpu_kernelIdlEEvPT_PKS3_lS6_S6_S6_PKlPKT0_S8_S6_llllllllllllS8_llb.num_named_barrier, 0
	.set _ZN2at6native12_GLOBAL__N_145ctc_loss_backward_collect_nonblank_gpu_kernelIdlEEvPT_PKS3_lS6_S6_S6_PKlPKT0_S8_S6_llllllllllllS8_llb.private_seg_size, 0
	.set _ZN2at6native12_GLOBAL__N_145ctc_loss_backward_collect_nonblank_gpu_kernelIdlEEvPT_PKS3_lS6_S6_S6_PKlPKT0_S8_S6_llllllllllllS8_llb.uses_vcc, 1
	.set _ZN2at6native12_GLOBAL__N_145ctc_loss_backward_collect_nonblank_gpu_kernelIdlEEvPT_PKS3_lS6_S6_S6_PKlPKT0_S8_S6_llllllllllllS8_llb.uses_flat_scratch, 0
	.set _ZN2at6native12_GLOBAL__N_145ctc_loss_backward_collect_nonblank_gpu_kernelIdlEEvPT_PKS3_lS6_S6_S6_PKlPKT0_S8_S6_llllllllllllS8_llb.has_dyn_sized_stack, 0
	.set _ZN2at6native12_GLOBAL__N_145ctc_loss_backward_collect_nonblank_gpu_kernelIdlEEvPT_PKS3_lS6_S6_S6_PKlPKT0_S8_S6_llllllllllllS8_llb.has_recursion, 0
	.set _ZN2at6native12_GLOBAL__N_145ctc_loss_backward_collect_nonblank_gpu_kernelIdlEEvPT_PKS3_lS6_S6_S6_PKlPKT0_S8_S6_llllllllllllS8_llb.has_indirect_call, 0
	.section	.AMDGPU.csdata,"",@progbits
; Kernel info:
; codeLenInByte = 1588
; TotalNumSgprs: 56
; NumVgprs: 29
; ScratchSize: 0
; MemoryBound: 0
; FloatMode: 240
; IeeeMode: 1
; LDSByteSize: 0 bytes/workgroup (compile time only)
; SGPRBlocks: 6
; VGPRBlocks: 7
; NumSGPRsForWavesPerEU: 56
; NumVGPRsForWavesPerEU: 29
; Occupancy: 8
; WaveLimiterHint : 1
; COMPUTE_PGM_RSRC2:SCRATCH_EN: 0
; COMPUTE_PGM_RSRC2:USER_SGPR: 6
; COMPUTE_PGM_RSRC2:TRAP_HANDLER: 0
; COMPUTE_PGM_RSRC2:TGID_X_EN: 1
; COMPUTE_PGM_RSRC2:TGID_Y_EN: 1
; COMPUTE_PGM_RSRC2:TGID_Z_EN: 0
; COMPUTE_PGM_RSRC2:TIDIG_COMP_CNT: 1
	.section	.text._ZN2at6native12_GLOBAL__N_136ctc_loss_backward_collect_gpu_kernelIdlEEvPT_PKS3_lS6_S6_S6_PKllPKT0_S8_lS6_llllllllllllS8_llllb,"axG",@progbits,_ZN2at6native12_GLOBAL__N_136ctc_loss_backward_collect_gpu_kernelIdlEEvPT_PKS3_lS6_S6_S6_PKllPKT0_S8_lS6_llllllllllllS8_llllb,comdat
	.globl	_ZN2at6native12_GLOBAL__N_136ctc_loss_backward_collect_gpu_kernelIdlEEvPT_PKS3_lS6_S6_S6_PKllPKT0_S8_lS6_llllllllllllS8_llllb ; -- Begin function _ZN2at6native12_GLOBAL__N_136ctc_loss_backward_collect_gpu_kernelIdlEEvPT_PKS3_lS6_S6_S6_PKllPKT0_S8_lS6_llllllllllllS8_llllb
	.p2align	8
	.type	_ZN2at6native12_GLOBAL__N_136ctc_loss_backward_collect_gpu_kernelIdlEEvPT_PKS3_lS6_S6_S6_PKllPKT0_S8_lS6_llllllllllllS8_llllb,@function
_ZN2at6native12_GLOBAL__N_136ctc_loss_backward_collect_gpu_kernelIdlEEvPT_PKS3_lS6_S6_S6_PKllPKT0_S8_lS6_llllllllllllS8_llllb: ; @_ZN2at6native12_GLOBAL__N_136ctc_loss_backward_collect_gpu_kernelIdlEEvPT_PKS3_lS6_S6_S6_PKllPKT0_S8_lS6_llllllllllllS8_llllb
; %bb.0:
	s_load_dword s8, s[4:5], 0xfc
	s_load_dwordx2 s[0:1], s[4:5], 0x38
	s_load_dwordx8 s[36:43], s[4:5], 0xc8
	v_mov_b32_e32 v3, 0
	v_mov_b32_e32 v2, v1
	;; [unrolled: 1-line block ×3, first 2 shown]
	s_waitcnt lgkmcnt(0)
	s_and_b32 s2, s8, 0xffff
	v_mov_b32_e32 v4, s6
	v_mad_u64_u32 v[4:5], s[2:3], s2, v4, v[0:1]
	s_lshr_b32 s2, s8, 16
	s_mul_i32 s7, s7, s2
	v_add_u32_e32 v2, s7, v2
	v_cmp_gt_i64_e32 vcc, s[0:1], v[4:5]
	v_cmp_gt_i64_e64 s[0:1], s[38:39], v[2:3]
	s_and_b64 s[0:1], vcc, s[0:1]
	s_and_saveexec_b64 s[2:3], s[0:1]
	s_cbranch_execz .LBB6_15
; %bb.1:
	s_load_dwordx2 s[0:1], s[4:5], 0x30
	s_load_dwordx2 s[6:7], s[4:5], 0x50
	v_lshlrev_b64 v[8:9], 3, v[2:3]
	s_load_dwordx16 s[12:27], s[4:5], 0x60
	s_mov_b64 s[28:29], 0
	s_waitcnt lgkmcnt(0)
	v_mov_b32_e32 v1, s1
	v_add_co_u32_e32 v0, vcc, s0, v8
	v_addc_co_u32_e32 v1, vcc, v1, v9, vcc
	global_load_dwordx2 v[6:7], v[0:1], off
	v_mad_u64_u32 v[0:1], s[0:1], s14, v2, 0
	v_mul_lo_u32 v3, v5, s12
	v_mul_lo_u32 v26, v4, s13
	v_mad_u64_u32 v[10:11], s[0:1], s15, v2, v[1:2]
	s_load_dwordx2 s[14:15], s[4:5], 0x0
	v_cmp_lt_i64_e64 s[0:1], s[6:7], 0
	v_mov_b32_e32 v1, v10
	v_lshlrev_b64 v[0:1], 3, v[0:1]
	s_and_b64 vcc, exec, s[0:1]
	s_cbranch_vccnz .LBB6_10
; %bb.2:
	s_load_dwordx2 s[8:9], s[4:5], 0xc0
	s_load_dwordx4 s[0:3], s[4:5], 0x40
	s_load_dwordx8 s[48:55], s[4:5], 0xa0
	v_mul_lo_u32 v20, v5, s26
	v_mul_lo_u32 v21, v4, s27
	s_waitcnt lgkmcnt(0)
	v_mov_b32_e32 v11, s9
	v_add_co_u32_e32 v10, vcc, s8, v8
	v_addc_co_u32_e32 v11, vcc, v11, v9, vcc
	global_load_dwordx2 v[14:15], v[10:11], off
	v_mov_b32_e32 v11, s3
	v_add_co_u32_e32 v10, vcc, s2, v8
	v_addc_co_u32_e32 v11, vcc, v11, v9, vcc
	global_load_dwordx2 v[16:17], v[10:11], off
	v_mad_u64_u32 v[10:11], s[2:3], s24, v2, 0
	v_mad_u64_u32 v[12:13], s[2:3], v4, s26, 0
	;; [unrolled: 1-line block ×3, first 2 shown]
	v_add3_u32 v13, v13, v21, v20
	v_mad_u64_u32 v[20:21], s[2:3], s25, v2, v[11:12]
	v_mad_u64_u32 v[23:24], s[2:3], s50, v2, 0
	v_add3_u32 v19, v19, v26, v3
	s_load_dwordx4 s[8:11], s[4:5], 0x18
	v_mov_b32_e32 v22, s15
	v_add_co_u32_e32 v25, vcc, s14, v0
	v_lshlrev_b64 v[18:19], 3, v[18:19]
	v_addc_co_u32_e32 v28, vcc, v22, v1, vcc
	v_add_co_u32_e32 v27, vcc, v25, v18
	v_mov_b32_e32 v11, v20
	v_mov_b32_e32 v18, v24
	v_addc_co_u32_e32 v28, vcc, v28, v19, vcc
	v_lshlrev_b64 v[10:11], 3, v[10:11]
	v_mad_u64_u32 v[18:19], s[2:3], s51, v2, v[18:19]
	s_waitcnt lgkmcnt(0)
	v_mov_b32_e32 v29, s9
	v_lshlrev_b64 v[12:13], 3, v[12:13]
	v_mul_lo_u32 v30, v5, s52
	v_mul_lo_u32 v31, v4, s53
	v_mad_u64_u32 v[21:22], s[2:3], v4, s52, 0
	v_add_co_u32_e32 v10, vcc, s8, v10
	v_addc_co_u32_e32 v11, vcc, v29, v11, vcc
	v_add_co_u32_e32 v10, vcc, v10, v12
	v_mov_b32_e32 v24, v18
	v_addc_co_u32_e32 v11, vcc, v11, v13, vcc
	v_lshlrev_b64 v[12:13], 3, v[23:24]
	v_add3_u32 v22, v22, v31, v30
	v_mov_b32_e32 v32, s11
	v_lshlrev_b64 v[19:20], 3, v[21:22]
	v_add_co_u32_e32 v12, vcc, s10, v12
	v_addc_co_u32_e32 v13, vcc, v32, v13, vcc
	v_add_co_u32_e32 v12, vcc, v12, v19
	v_addc_co_u32_e32 v13, vcc, v13, v20, vcc
	s_mov_b32 s30, 0x652b82fe
	s_mov_b32 s34, 0xfefa39ef
	;; [unrolled: 1-line block ×4, first 2 shown]
	v_mov_b32_e32 v33, s1
	s_lshl_b64 s[24:25], s[48:49], 3
	s_lshl_b64 s[46:47], s[54:55], 3
	s_mov_b32 s48, 0x6a5dcb37
	s_mov_b32 s50, 0x623fde64
	;; [unrolled: 1-line block ×11, first 2 shown]
	s_waitcnt vmcnt(1)
	v_lshlrev_b64 v[18:19], 3, v[14:15]
	s_mov_b32 s70, 0xd7f4df2e
	v_add_co_u32_e32 v29, vcc, s0, v18
	s_mov_b32 s72, 0x16291751
	s_mov_b32 s74, 0x9b27acf1
	s_waitcnt vmcnt(0)
	v_lshlrev_b64 v[14:15], 1, v[16:17]
	s_mov_b32 s76, 0x998ef7b6
	s_mov_b32 s80, 0
	;; [unrolled: 1-line block ×4, first 2 shown]
	s_lshl_b64 s[26:27], s[6:7], 1
	s_mov_b32 s31, 0x3ff71547
	s_mov_b32 s35, 0xbfe62e42
	;; [unrolled: 1-line block ×4, first 2 shown]
	v_addc_co_u32_e32 v30, vcc, v33, v19, vcc
	s_mov_b32 s49, 0x3e5ade15
	s_mov_b32 s51, 0x3ec71dee
	;; [unrolled: 1-line block ×13, first 2 shown]
	v_mov_b32_e32 v31, 0x7ff00000
	v_mov_b32_e32 v32, 0x7ff80000
	s_mov_b32 s75, 0x3fd24924
	v_mov_b32_e32 v16, 0x6b47b09a
	s_mov_b32 s77, 0x3fd99999
	v_mov_b32_e32 v33, 0xfff00000
	s_movk_i32 s13, 0x204
	v_mov_b32_e32 v17, 0x3fc38538
	s_mov_b32 s79, 0
	s_mov_b32 s81, 0xfff00000
	s_mov_b32 s83, 0x40900000
	s_mov_b32 s85, 0xc090cc00
	s_mov_b32 s86, 0x55555780
	s_mov_b32 s89, 0x3fe62e42
	s_mov_b32 s91, 0x3c7abc9e
	s_branch .LBB6_5
.LBB6_3:                                ;   in Loop: Header=BB6_5 Depth=1
	s_or_b64 exec, exec, s[94:95]
	global_store_dwordx2 v[18:19], v[22:23], off
.LBB6_4:                                ;   in Loop: Header=BB6_5 Depth=1
	s_or_b64 exec, exec, s[92:93]
	s_add_u32 s28, s28, 1
	v_mov_b32_e32 v18, s25
	v_add_co_u32_e32 v10, vcc, s24, v10
	s_addc_u32 s29, s29, 0
	v_addc_co_u32_e32 v11, vcc, v11, v18, vcc
	v_mov_b32_e32 v18, s28
	v_mov_b32_e32 v19, s29
	v_cmp_lt_i64_e32 vcc, s[26:27], v[18:19]
	v_mov_b32_e32 v20, s47
	v_add_co_u32_e64 v12, s[0:1], s46, v12
	v_addc_co_u32_e64 v13, s[0:1], v13, v20, s[0:1]
	s_cbranch_vccnz .LBB6_10
.LBB6_5:                                ; =>This Inner Loop Header: Depth=1
	v_cmp_le_i64_e32 vcc, s[28:29], v[14:15]
	s_and_saveexec_b64 s[92:93], vcc
	s_cbranch_execz .LBB6_4
; %bb.6:                                ;   in Loop: Header=BB6_5 Depth=1
	s_and_b32 s78, s28, 1
	v_mov_b32_e32 v18, s42
	s_cmp_eq_u64 s[78:79], 0
	v_mov_b32_e32 v19, s43
	s_cbranch_scc1 .LBB6_8
; %bb.7:                                ;   in Loop: Header=BB6_5 Depth=1
	s_lshr_b64 s[0:1], s[28:29], 1
	s_lshr_b32 s1, s29, 1
	s_mul_i32 s1, s36, s1
	s_mul_hi_u32 s2, s36, s0
	s_add_i32 s1, s2, s1
	s_mul_i32 s2, s37, s0
	s_add_i32 s1, s1, s2
	s_mul_i32 s0, s36, s0
	s_lshl_b64 s[0:1], s[0:1], 3
	v_mov_b32_e32 v19, s1
	v_add_co_u32_e32 v18, vcc, s0, v29
	v_addc_co_u32_e32 v19, vcc, v30, v19, vcc
	global_load_dwordx2 v[18:19], v[18:19], off
.LBB6_8:                                ;   in Loop: Header=BB6_5 Depth=1
	s_waitcnt vmcnt(0)
	v_mul_lo_u32 v24, v19, s16
	v_mul_lo_u32 v25, v18, s17
	v_mad_u64_u32 v[18:19], s[0:1], v18, s16, 0
	global_load_dwordx2 v[20:21], v[10:11], off
	global_load_dwordx2 v[22:23], v[12:13], off
	v_add3_u32 v19, v19, v25, v24
	v_lshlrev_b64 v[18:19], 3, v[18:19]
	v_add_co_u32_e32 v18, vcc, v27, v18
	v_addc_co_u32_e32 v19, vcc, v28, v19, vcc
	global_load_dwordx2 v[24:25], v[18:19], off
	s_waitcnt vmcnt(1)
	v_add_f64 v[22:23], v[20:21], v[22:23]
	s_waitcnt vmcnt(0)
	v_cmp_neq_f64_e32 vcc, s[80:81], v[24:25]
	s_and_saveexec_b64 s[94:95], vcc
	s_cbranch_execz .LBB6_3
; %bb.9:                                ;   in Loop: Header=BB6_5 Depth=1
	v_cmp_gt_f64_e32 vcc, v[24:25], v[22:23]
	v_mov_b32_e32 v42, s44
	v_mov_b32_e32 v43, s45
	s_mov_b32 s87, s67
	s_mov_b32 s88, s34
	;; [unrolled: 1-line block ×3, first 2 shown]
	v_cndmask_b32_e32 v21, v23, v25, vcc
	v_cndmask_b32_e32 v20, v22, v24, vcc
	v_add_f64 v[24:25], v[24:25], -v[20:21]
	v_add_f64 v[22:23], v[22:23], -v[20:21]
	v_mul_f64 v[34:35], v[24:25], s[30:31]
	v_mul_f64 v[36:37], v[22:23], s[30:31]
	v_cmp_nlt_f64_e32 vcc, s[82:83], v[24:25]
	v_cmp_ngt_f64_e64 s[0:1], s[84:85], v[24:25]
	v_cmp_nlt_f64_e64 s[2:3], s[82:83], v[22:23]
	v_cmp_ngt_f64_e64 s[6:7], s[84:85], v[22:23]
	v_rndne_f64_e32 v[34:35], v[34:35]
	v_rndne_f64_e32 v[36:37], v[36:37]
	s_and_b64 s[8:9], s[0:1], vcc
	s_and_b64 s[10:11], s[6:7], s[2:3]
	v_fma_f64 v[38:39], v[34:35], s[34:35], v[24:25]
	v_fma_f64 v[40:41], v[36:37], s[34:35], v[22:23]
	v_cvt_i32_f64_e32 v24, v[34:35]
	v_cvt_i32_f64_e32 v25, v[36:37]
	v_fma_f64 v[38:39], v[34:35], s[38:39], v[38:39]
	v_fma_f64 v[40:41], v[36:37], s[38:39], v[40:41]
	;; [unrolled: 1-line block ×20, first 2 shown]
	v_fma_f64 v[44:45], v[38:39], v[44:45], 1.0
	v_fma_f64 v[42:43], v[40:41], v[42:43], 1.0
	;; [unrolled: 1-line block ×4, first 2 shown]
	v_ldexp_f64 v[22:23], v[38:39], v24
	v_ldexp_f64 v[24:25], v[40:41], v25
	v_cndmask_b32_e32 v23, v31, v23, vcc
	v_cndmask_b32_e64 v25, v31, v25, s[2:3]
	v_cndmask_b32_e64 v22, 0, v22, s[8:9]
	;; [unrolled: 1-line block ×5, first 2 shown]
	v_add_f64 v[22:23], v[22:23], v[24:25]
	v_frexp_mant_f64_e32 v[24:25], v[22:23]
	v_cmp_ngt_f64_e64 s[0:1], 0, v[22:23]
	v_cmp_nge_f64_e64 s[2:3], 0, v[22:23]
	v_cmp_neq_f64_e64 s[6:7], 0, v[22:23]
	v_cmp_gt_f64_e32 vcc, s[66:67], v[24:25]
	v_cndmask_b32_e64 v34, 0, 1, vcc
	v_ldexp_f64 v[24:25], v[24:25], v34
	v_add_f64 v[34:35], v[24:25], 1.0
	v_add_f64 v[40:41], v[24:25], -1.0
	v_rcp_f64_e32 v[36:37], v[34:35]
	v_add_f64 v[42:43], v[34:35], -1.0
	v_add_f64 v[24:25], v[24:25], -v[42:43]
	v_fma_f64 v[38:39], -v[34:35], v[36:37], 1.0
	v_fma_f64 v[36:37], v[38:39], v[36:37], v[36:37]
	v_fma_f64 v[38:39], -v[34:35], v[36:37], 1.0
	v_fma_f64 v[36:37], v[38:39], v[36:37], v[36:37]
	v_mul_f64 v[38:39], v[40:41], v[36:37]
	v_mul_f64 v[44:45], v[34:35], v[38:39]
	v_fma_f64 v[34:35], v[38:39], v[34:35], -v[44:45]
	v_fma_f64 v[24:25], v[38:39], v[24:25], v[34:35]
	v_add_f64 v[34:35], v[44:45], v[24:25]
	v_add_f64 v[42:43], v[40:41], -v[34:35]
	v_add_f64 v[44:45], v[34:35], -v[44:45]
	;; [unrolled: 1-line block ×5, first 2 shown]
	v_add_f64 v[24:25], v[24:25], v[34:35]
	v_add_f64 v[24:25], v[42:43], v[24:25]
	v_mul_f64 v[24:25], v[36:37], v[24:25]
	v_add_f64 v[34:35], v[38:39], v[24:25]
	v_mul_f64 v[36:37], v[34:35], v[34:35]
	v_fma_f64 v[40:41], v[36:37], s[68:69], v[16:17]
	v_mul_f64 v[42:43], v[34:35], v[36:37]
	v_fma_f64 v[40:41], v[36:37], v[40:41], s[70:71]
	v_fma_f64 v[40:41], v[36:37], v[40:41], s[72:73]
	;; [unrolled: 1-line block ×5, first 2 shown]
	v_ldexp_f64 v[40:41], v[34:35], 1
	v_add_f64 v[34:35], v[34:35], -v[38:39]
	v_mul_f64 v[36:37], v[42:43], v[36:37]
	v_frexp_exp_i32_f64_e32 v42, v[22:23]
	v_add_f64 v[24:25], v[24:25], -v[34:35]
	v_add_f64 v[38:39], v[40:41], v[36:37]
	v_subbrev_co_u32_e32 v42, vcc, 0, v42, vcc
	v_cvt_f64_i32_e32 v[42:43], v42
	v_ldexp_f64 v[24:25], v[24:25], 1
	v_cmp_class_f64_e64 vcc, v[22:23], s13
	v_mul_f64 v[44:45], v[42:43], s[88:89]
	v_add_f64 v[34:35], v[38:39], -v[40:41]
	v_fma_f64 v[40:41], v[42:43], s[88:89], -v[44:45]
	v_add_f64 v[34:35], v[36:37], -v[34:35]
	v_fma_f64 v[36:37], v[42:43], s[90:91], v[40:41]
	v_add_f64 v[24:25], v[24:25], v[34:35]
	v_add_f64 v[34:35], v[44:45], v[36:37]
	;; [unrolled: 1-line block ×3, first 2 shown]
	v_add_f64 v[44:45], v[34:35], -v[44:45]
	v_add_f64 v[42:43], v[34:35], v[40:41]
	v_add_f64 v[38:39], v[40:41], -v[38:39]
	v_add_f64 v[36:37], v[36:37], -v[44:45]
	;; [unrolled: 1-line block ×6, first 2 shown]
	v_add_f64 v[40:41], v[36:37], v[24:25]
	v_add_f64 v[34:35], v[34:35], -v[48:49]
	v_add_f64 v[34:35], v[38:39], v[34:35]
	v_add_f64 v[38:39], v[40:41], -v[36:37]
	v_add_f64 v[34:35], v[40:41], v[34:35]
	v_add_f64 v[40:41], v[40:41], -v[38:39]
	v_add_f64 v[24:25], v[24:25], -v[38:39]
	v_add_f64 v[44:45], v[42:43], v[34:35]
	v_add_f64 v[36:37], v[36:37], -v[40:41]
	v_add_f64 v[38:39], v[44:45], -v[42:43]
	v_add_f64 v[24:25], v[24:25], v[36:37]
	v_add_f64 v[34:35], v[34:35], -v[38:39]
	v_add_f64 v[24:25], v[24:25], v[34:35]
	v_add_f64 v[24:25], v[44:45], v[24:25]
	v_cndmask_b32_e32 v23, v25, v23, vcc
	v_cndmask_b32_e32 v22, v24, v22, vcc
	v_cndmask_b32_e64 v23, v32, v23, s[0:1]
	v_cndmask_b32_e64 v22, 0, v22, s[2:3]
	;; [unrolled: 1-line block ×3, first 2 shown]
	v_add_f64 v[22:23], v[20:21], v[22:23]
	s_branch .LBB6_3
.LBB6_10:
	v_cmp_lt_i64_e64 s[0:1], s[40:41], 1
	s_and_b64 vcc, exec, s[0:1]
	s_cbranch_vccnz .LBB6_15
; %bb.11:
	s_load_dwordx2 s[0:1], s[4:5], 0x58
	s_load_dwordx4 s[8:11], s[4:5], 0x8
	s_load_dwordx2 s[2:3], s[4:5], 0x28
	s_load_dword s33, s[4:5], 0xe8
	s_waitcnt lgkmcnt(0)
	v_mov_b32_e32 v16, s15
	v_mov_b32_e32 v12, s1
	v_mad_u64_u32 v[10:11], s[4:5], s10, v2, 0
	v_add_co_u32_e32 v8, vcc, s0, v8
	v_addc_co_u32_e32 v9, vcc, v12, v9, vcc
	global_load_dwordx2 v[8:9], v[8:9], off
	v_mad_u64_u32 v[11:12], s[0:1], s11, v2, v[11:12]
	v_mov_b32_e32 v12, s9
	v_mad_u64_u32 v[14:15], s[0:1], v4, s12, 0
	v_lshlrev_b64 v[10:11], 3, v[10:11]
	s_bitcmp1_b32 s33, 0
	v_add_co_u32_e32 v10, vcc, s8, v10
	v_addc_co_u32_e32 v11, vcc, v12, v11, vcc
	global_load_dwordx2 v[10:11], v[10:11], off
	v_mad_u64_u32 v[12:13], s[0:1], s20, v2, 0
	s_waitcnt vmcnt(2)
	v_cmp_lt_i64_e32 vcc, v[4:5], v[6:7]
	v_mul_lo_u32 v6, v5, s18
	v_mul_lo_u32 v7, v4, s19
	v_mad_u64_u32 v[4:5], s[0:1], v4, s18, 0
	v_add_co_u32_e64 v17, s[0:1], s14, v0
	v_mov_b32_e32 v0, v13
	v_add3_u32 v15, v15, v26, v3
	v_addc_co_u32_e64 v16, s[0:1], v16, v1, s[0:1]
	v_mad_u64_u32 v[2:3], s[0:1], s21, v2, v[0:1]
	v_lshlrev_b64 v[0:1], 3, v[14:15]
	s_cselect_b64 s[0:1], -1, 0
	s_mov_b32 s4, 0
	s_xor_b64 s[20:21], s[0:1], -1
	v_add_co_u32_e64 v0, s[0:1], v17, v0
	s_mov_b32 s5, 0x7ff00000
	v_addc_co_u32_e64 v1, s[0:1], v16, v1, s[0:1]
	v_add3_u32 v5, v5, v7, v6
	v_mov_b32_e32 v13, v2
	v_lshlrev_b64 v[3:4], 3, v[4:5]
	v_lshlrev_b64 v[5:6], 3, v[12:13]
	v_mov_b32_e32 v7, s3
	v_add_co_u32_e64 v2, s[2:3], s2, v5
	v_addc_co_u32_e64 v5, s[2:3], v7, v6, s[2:3]
	s_mov_b32 s6, 0x652b82fe
	s_mov_b32 s8, 0xfefa39ef
	;; [unrolled: 1-line block ×14, first 2 shown]
	s_lshl_b64 s[14:15], s[22:23], 3
	v_add_co_u32_e64 v2, s[2:3], v2, v3
	s_mov_b32 s22, 0
	s_mov_b32 s7, 0x3ff71547
	s_mov_b32 s9, 0xbfe62e42
	s_mov_b32 s11, 0xbc7abc9e
	s_mov_b32 s13, 0x3e928af3
	s_mov_b32 s19, 0x3e5ade15
	s_mov_b32 s25, 0x3ec71dee
	s_mov_b32 s27, 0x3efa0199
	s_mov_b32 s29, 0x3f2a01a0
	s_mov_b32 s31, 0x3f56c16c
	s_mov_b32 s35, 0x3f811111
	s_mov_b32 s37, 0x3fa55555
	s_mov_b32 s39, 0x3fc55555
	s_mov_b32 s43, 0x3fe00000
	s_mov_b32 s45, 0x40900000
	s_lshl_b64 s[16:17], s[16:17], 3
	v_addc_co_u32_e64 v3, s[2:3], v5, v4, s[2:3]
	s_waitcnt vmcnt(1)
	v_cmp_neq_f64_e64 s[0:1], s[4:5], v[8:9]
	s_mov_b32 s23, 0xc090cc00
	v_mov_b32_e32 v6, 0x7ff00000
	s_or_b64 s[0:1], s[20:21], s[0:1]
	s_and_b64 s[20:21], vcc, s[0:1]
	s_branch .LBB6_13
.LBB6_12:                               ;   in Loop: Header=BB6_13 Depth=1
	s_or_b64 exec, exec, s[46:47]
	global_store_dwordx2 v[0:1], v[4:5], off
	v_mov_b32_e32 v4, s15
	v_add_co_u32_e32 v2, vcc, s14, v2
	s_add_u32 s40, s40, -1
	v_addc_co_u32_e32 v3, vcc, v3, v4, vcc
	s_addc_u32 s41, s41, -1
	v_mov_b32_e32 v4, s17
	v_add_co_u32_e32 v0, vcc, s16, v0
	s_cmp_lg_u64 s[40:41], 0
	v_addc_co_u32_e32 v1, vcc, v1, v4, vcc
	s_cbranch_scc0 .LBB6_15
.LBB6_13:                               ; =>This Inner Loop Header: Depth=1
	v_mov_b32_e32 v4, 0
	v_mov_b32_e32 v5, 0
	s_and_saveexec_b64 s[46:47], s[20:21]
	s_cbranch_execz .LBB6_12
; %bb.14:                               ;   in Loop: Header=BB6_13 Depth=1
	global_load_dwordx2 v[4:5], v[0:1], off
	global_load_dwordx2 v[12:13], v[2:3], off
	v_mov_b32_e32 v23, s13
	v_mov_b32_e32 v22, s12
	s_waitcnt vmcnt(1)
	v_add_f64 v[4:5], v[8:9], v[4:5]
	s_waitcnt vmcnt(0)
	v_mul_f64 v[14:15], v[12:13], s[6:7]
	v_cmp_nlt_f64_e32 vcc, s[44:45], v[12:13]
	v_cmp_ngt_f64_e64 s[0:1], s[22:23], v[12:13]
	v_add_f64 v[4:5], v[4:5], -v[12:13]
	v_rndne_f64_e32 v[14:15], v[14:15]
	v_mul_f64 v[16:17], v[4:5], s[6:7]
	v_fma_f64 v[18:19], v[14:15], s[8:9], v[12:13]
	v_cvt_i32_f64_e32 v7, v[14:15]
	v_cmp_nlt_f64_e64 s[2:3], s[44:45], v[4:5]
	v_cmp_ngt_f64_e64 s[4:5], s[22:23], v[4:5]
	v_rndne_f64_e32 v[16:17], v[16:17]
	v_fma_f64 v[18:19], v[14:15], s[10:11], v[18:19]
	v_fma_f64 v[20:21], v[16:17], s[8:9], v[4:5]
	;; [unrolled: 1-line block ×5, first 2 shown]
	v_cvt_i32_f64_e32 v16, v[16:17]
	v_fma_f64 v[22:23], v[20:21], s[18:19], v[22:23]
	v_fma_f64 v[24:25], v[18:19], v[24:25], s[26:27]
	;; [unrolled: 1-line block ×15, first 2 shown]
	v_fma_f64 v[24:25], v[18:19], v[24:25], 1.0
	v_fma_f64 v[22:23], v[20:21], v[22:23], s[42:43]
	v_fma_f64 v[18:19], v[18:19], v[24:25], 1.0
	v_fma_f64 v[22:23], v[20:21], v[22:23], 1.0
	v_ldexp_f64 v[14:15], v[18:19], v7
	v_fma_f64 v[20:21], v[20:21], v[22:23], 1.0
	v_cndmask_b32_e32 v7, v6, v15, vcc
	s_and_b64 vcc, s[0:1], vcc
	v_cndmask_b32_e32 v4, 0, v14, vcc
	s_and_b64 vcc, s[4:5], s[2:3]
	v_cndmask_b32_e64 v5, 0, v7, s[0:1]
	v_ldexp_f64 v[16:17], v[20:21], v16
	v_cndmask_b32_e64 v12, v6, v17, s[2:3]
	v_cndmask_b32_e64 v13, 0, v12, s[4:5]
	v_cndmask_b32_e32 v12, 0, v16, vcc
	v_add_f64 v[4:5], v[4:5], -v[12:13]
	v_mul_f64 v[4:5], v[10:11], v[4:5]
	s_branch .LBB6_12
.LBB6_15:
	s_endpgm
	.section	.rodata,"a",@progbits
	.p2align	6, 0x0
	.amdhsa_kernel _ZN2at6native12_GLOBAL__N_136ctc_loss_backward_collect_gpu_kernelIdlEEvPT_PKS3_lS6_S6_S6_PKllPKT0_S8_lS6_llllllllllllS8_llllb
		.amdhsa_group_segment_fixed_size 0
		.amdhsa_private_segment_fixed_size 0
		.amdhsa_kernarg_size 496
		.amdhsa_user_sgpr_count 6
		.amdhsa_user_sgpr_private_segment_buffer 1
		.amdhsa_user_sgpr_dispatch_ptr 0
		.amdhsa_user_sgpr_queue_ptr 0
		.amdhsa_user_sgpr_kernarg_segment_ptr 1
		.amdhsa_user_sgpr_dispatch_id 0
		.amdhsa_user_sgpr_flat_scratch_init 0
		.amdhsa_user_sgpr_private_segment_size 0
		.amdhsa_uses_dynamic_stack 0
		.amdhsa_system_sgpr_private_segment_wavefront_offset 0
		.amdhsa_system_sgpr_workgroup_id_x 1
		.amdhsa_system_sgpr_workgroup_id_y 1
		.amdhsa_system_sgpr_workgroup_id_z 0
		.amdhsa_system_sgpr_workgroup_info 0
		.amdhsa_system_vgpr_workitem_id 1
		.amdhsa_next_free_vgpr 50
		.amdhsa_next_free_sgpr 96
		.amdhsa_reserve_vcc 1
		.amdhsa_reserve_flat_scratch 0
		.amdhsa_float_round_mode_32 0
		.amdhsa_float_round_mode_16_64 0
		.amdhsa_float_denorm_mode_32 3
		.amdhsa_float_denorm_mode_16_64 3
		.amdhsa_dx10_clamp 1
		.amdhsa_ieee_mode 1
		.amdhsa_fp16_overflow 0
		.amdhsa_exception_fp_ieee_invalid_op 0
		.amdhsa_exception_fp_denorm_src 0
		.amdhsa_exception_fp_ieee_div_zero 0
		.amdhsa_exception_fp_ieee_overflow 0
		.amdhsa_exception_fp_ieee_underflow 0
		.amdhsa_exception_fp_ieee_inexact 0
		.amdhsa_exception_int_div_zero 0
	.end_amdhsa_kernel
	.section	.text._ZN2at6native12_GLOBAL__N_136ctc_loss_backward_collect_gpu_kernelIdlEEvPT_PKS3_lS6_S6_S6_PKllPKT0_S8_lS6_llllllllllllS8_llllb,"axG",@progbits,_ZN2at6native12_GLOBAL__N_136ctc_loss_backward_collect_gpu_kernelIdlEEvPT_PKS3_lS6_S6_S6_PKllPKT0_S8_lS6_llllllllllllS8_llllb,comdat
.Lfunc_end6:
	.size	_ZN2at6native12_GLOBAL__N_136ctc_loss_backward_collect_gpu_kernelIdlEEvPT_PKS3_lS6_S6_S6_PKllPKT0_S8_lS6_llllllllllllS8_llllb, .Lfunc_end6-_ZN2at6native12_GLOBAL__N_136ctc_loss_backward_collect_gpu_kernelIdlEEvPT_PKS3_lS6_S6_S6_PKllPKT0_S8_lS6_llllllllllllS8_llllb
                                        ; -- End function
	.set _ZN2at6native12_GLOBAL__N_136ctc_loss_backward_collect_gpu_kernelIdlEEvPT_PKS3_lS6_S6_S6_PKllPKT0_S8_lS6_llllllllllllS8_llllb.num_vgpr, 50
	.set _ZN2at6native12_GLOBAL__N_136ctc_loss_backward_collect_gpu_kernelIdlEEvPT_PKS3_lS6_S6_S6_PKllPKT0_S8_lS6_llllllllllllS8_llllb.num_agpr, 0
	.set _ZN2at6native12_GLOBAL__N_136ctc_loss_backward_collect_gpu_kernelIdlEEvPT_PKS3_lS6_S6_S6_PKllPKT0_S8_lS6_llllllllllllS8_llllb.numbered_sgpr, 96
	.set _ZN2at6native12_GLOBAL__N_136ctc_loss_backward_collect_gpu_kernelIdlEEvPT_PKS3_lS6_S6_S6_PKllPKT0_S8_lS6_llllllllllllS8_llllb.num_named_barrier, 0
	.set _ZN2at6native12_GLOBAL__N_136ctc_loss_backward_collect_gpu_kernelIdlEEvPT_PKS3_lS6_S6_S6_PKllPKT0_S8_lS6_llllllllllllS8_llllb.private_seg_size, 0
	.set _ZN2at6native12_GLOBAL__N_136ctc_loss_backward_collect_gpu_kernelIdlEEvPT_PKS3_lS6_S6_S6_PKllPKT0_S8_lS6_llllllllllllS8_llllb.uses_vcc, 1
	.set _ZN2at6native12_GLOBAL__N_136ctc_loss_backward_collect_gpu_kernelIdlEEvPT_PKS3_lS6_S6_S6_PKllPKT0_S8_lS6_llllllllllllS8_llllb.uses_flat_scratch, 0
	.set _ZN2at6native12_GLOBAL__N_136ctc_loss_backward_collect_gpu_kernelIdlEEvPT_PKS3_lS6_S6_S6_PKllPKT0_S8_lS6_llllllllllllS8_llllb.has_dyn_sized_stack, 0
	.set _ZN2at6native12_GLOBAL__N_136ctc_loss_backward_collect_gpu_kernelIdlEEvPT_PKS3_lS6_S6_S6_PKllPKT0_S8_lS6_llllllllllllS8_llllb.has_recursion, 0
	.set _ZN2at6native12_GLOBAL__N_136ctc_loss_backward_collect_gpu_kernelIdlEEvPT_PKS3_lS6_S6_S6_PKllPKT0_S8_lS6_llllllllllllS8_llllb.has_indirect_call, 0
	.section	.AMDGPU.csdata,"",@progbits
; Kernel info:
; codeLenInByte = 3340
; TotalNumSgprs: 100
; NumVgprs: 50
; ScratchSize: 0
; MemoryBound: 0
; FloatMode: 240
; IeeeMode: 1
; LDSByteSize: 0 bytes/workgroup (compile time only)
; SGPRBlocks: 12
; VGPRBlocks: 12
; NumSGPRsForWavesPerEU: 100
; NumVGPRsForWavesPerEU: 50
; Occupancy: 4
; WaveLimiterHint : 1
; COMPUTE_PGM_RSRC2:SCRATCH_EN: 0
; COMPUTE_PGM_RSRC2:USER_SGPR: 6
; COMPUTE_PGM_RSRC2:TRAP_HANDLER: 0
; COMPUTE_PGM_RSRC2:TGID_X_EN: 1
; COMPUTE_PGM_RSRC2:TGID_Y_EN: 1
; COMPUTE_PGM_RSRC2:TGID_Z_EN: 0
; COMPUTE_PGM_RSRC2:TIDIG_COMP_CNT: 1
	.section	.text._ZN2at6native12_GLOBAL__N_130ctc_loss_zero_padded_gradientsIdEEvPT_PKlllllll,"axG",@progbits,_ZN2at6native12_GLOBAL__N_130ctc_loss_zero_padded_gradientsIdEEvPT_PKlllllll,comdat
	.globl	_ZN2at6native12_GLOBAL__N_130ctc_loss_zero_padded_gradientsIdEEvPT_PKlllllll ; -- Begin function _ZN2at6native12_GLOBAL__N_130ctc_loss_zero_padded_gradientsIdEEvPT_PKlllllll
	.p2align	8
	.type	_ZN2at6native12_GLOBAL__N_130ctc_loss_zero_padded_gradientsIdEEvPT_PKlllllll,@function
_ZN2at6native12_GLOBAL__N_130ctc_loss_zero_padded_gradientsIdEEvPT_PKlllllll: ; @_ZN2at6native12_GLOBAL__N_130ctc_loss_zero_padded_gradientsIdEEvPT_PKlllllll
; %bb.0:
	s_load_dword s16, s[4:5], 0x4c
	s_load_dwordx4 s[0:3], s[4:5], 0x30
	s_load_dwordx8 s[8:15], s[4:5], 0x10
	v_mov_b32_e32 v3, 0
	v_mov_b32_e32 v2, v1
	s_waitcnt lgkmcnt(0)
	s_lshr_b32 s18, s16, 16
	v_mov_b32_e32 v1, v3
	s_and_b32 s16, s16, 0xffff
	v_mov_b32_e32 v4, s6
	v_mad_u64_u32 v[0:1], s[16:17], s16, v4, v[0:1]
	s_mul_i32 s7, s7, s18
	v_add_u32_e32 v2, s7, v2
	v_cmp_gt_i64_e32 vcc, s[0:1], v[2:3]
	v_cmp_gt_i64_e64 s[0:1], s[14:15], v[0:1]
	s_and_b64 s[0:1], vcc, s[0:1]
	s_and_saveexec_b64 s[6:7], s[0:1]
	s_cbranch_execz .LBB7_4
; %bb.1:
	s_load_dwordx2 s[0:1], s[4:5], 0x8
	v_lshlrev_b64 v[3:4], 3, v[2:3]
	v_cvt_f64_u32_e32 v[6:7], v1
	v_cvt_f64_u32_e32 v[10:11], v0
	s_mov_b64 s[6:7], 0
	s_waitcnt lgkmcnt(0)
	v_mov_b32_e32 v5, s1
	v_add_co_u32_e32 v3, vcc, s0, v3
	v_addc_co_u32_e32 v4, vcc, v5, v4, vcc
	global_load_dwordx2 v[3:4], v[3:4], off
	v_ldexp_f64 v[6:7], v[6:7], 32
	v_cmp_gt_i64_e64 s[0:1], s[2:3], 0
	s_waitcnt vmcnt(0)
	v_cvt_f64_i32_e32 v[4:5], v4
	v_cvt_f64_u32_e32 v[8:9], v3
	v_ldexp_f64 v[4:5], v[4:5], 32
	v_add_f64 v[3:4], v[4:5], v[8:9]
	v_add_f64 v[5:6], v[6:7], v[10:11]
	v_cmp_ge_f64_e32 vcc, v[5:6], v[3:4]
	s_and_b64 s[0:1], vcc, s[0:1]
	s_and_b64 exec, exec, s[0:1]
	s_cbranch_execz .LBB7_4
; %bb.2:
	v_mad_u64_u32 v[3:4], s[0:1], s10, v2, 0
	v_mul_lo_u32 v6, v1, s8
	v_mul_lo_u32 v7, v0, s9
	v_mad_u64_u32 v[0:1], s[0:1], v0, s8, 0
	v_mad_u64_u32 v[4:5], s[0:1], s11, v2, v[4:5]
	s_load_dwordx2 s[0:1], s[4:5], 0x0
	v_add3_u32 v1, v1, v7, v6
	v_lshlrev_b64 v[0:1], 3, v[0:1]
	s_lshl_b64 s[4:5], s[12:13], 3
	s_waitcnt lgkmcnt(0)
	v_mov_b32_e32 v2, s1
	v_add_co_u32_e32 v5, vcc, s0, v0
	v_addc_co_u32_e32 v2, vcc, v2, v1, vcc
	v_lshlrev_b64 v[0:1], 3, v[3:4]
	v_mov_b32_e32 v4, s5
	v_add_co_u32_e32 v0, vcc, v5, v0
	v_addc_co_u32_e32 v1, vcc, v2, v1, vcc
	v_mov_b32_e32 v2, 0
	v_mov_b32_e32 v3, v2
.LBB7_3:                                ; =>This Inner Loop Header: Depth=1
	s_add_u32 s6, s6, 1
	s_addc_u32 s7, s7, 0
	v_mov_b32_e32 v5, s6
	v_mov_b32_e32 v6, s7
	global_store_dwordx2 v[0:1], v[2:3], off
	v_add_co_u32_e32 v0, vcc, s4, v0
	v_cmp_gt_i64_e64 s[0:1], s[2:3], v[5:6]
	v_addc_co_u32_e32 v1, vcc, v1, v4, vcc
	s_and_b64 vcc, exec, s[0:1]
	s_cbranch_vccnz .LBB7_3
.LBB7_4:
	s_endpgm
	.section	.rodata,"a",@progbits
	.p2align	6, 0x0
	.amdhsa_kernel _ZN2at6native12_GLOBAL__N_130ctc_loss_zero_padded_gradientsIdEEvPT_PKlllllll
		.amdhsa_group_segment_fixed_size 0
		.amdhsa_private_segment_fixed_size 0
		.amdhsa_kernarg_size 320
		.amdhsa_user_sgpr_count 6
		.amdhsa_user_sgpr_private_segment_buffer 1
		.amdhsa_user_sgpr_dispatch_ptr 0
		.amdhsa_user_sgpr_queue_ptr 0
		.amdhsa_user_sgpr_kernarg_segment_ptr 1
		.amdhsa_user_sgpr_dispatch_id 0
		.amdhsa_user_sgpr_flat_scratch_init 0
		.amdhsa_user_sgpr_private_segment_size 0
		.amdhsa_uses_dynamic_stack 0
		.amdhsa_system_sgpr_private_segment_wavefront_offset 0
		.amdhsa_system_sgpr_workgroup_id_x 1
		.amdhsa_system_sgpr_workgroup_id_y 1
		.amdhsa_system_sgpr_workgroup_id_z 0
		.amdhsa_system_sgpr_workgroup_info 0
		.amdhsa_system_vgpr_workitem_id 1
		.amdhsa_next_free_vgpr 12
		.amdhsa_next_free_sgpr 19
		.amdhsa_reserve_vcc 1
		.amdhsa_reserve_flat_scratch 0
		.amdhsa_float_round_mode_32 0
		.amdhsa_float_round_mode_16_64 0
		.amdhsa_float_denorm_mode_32 3
		.amdhsa_float_denorm_mode_16_64 3
		.amdhsa_dx10_clamp 1
		.amdhsa_ieee_mode 1
		.amdhsa_fp16_overflow 0
		.amdhsa_exception_fp_ieee_invalid_op 0
		.amdhsa_exception_fp_denorm_src 0
		.amdhsa_exception_fp_ieee_div_zero 0
		.amdhsa_exception_fp_ieee_overflow 0
		.amdhsa_exception_fp_ieee_underflow 0
		.amdhsa_exception_fp_ieee_inexact 0
		.amdhsa_exception_int_div_zero 0
	.end_amdhsa_kernel
	.section	.text._ZN2at6native12_GLOBAL__N_130ctc_loss_zero_padded_gradientsIdEEvPT_PKlllllll,"axG",@progbits,_ZN2at6native12_GLOBAL__N_130ctc_loss_zero_padded_gradientsIdEEvPT_PKlllllll,comdat
.Lfunc_end7:
	.size	_ZN2at6native12_GLOBAL__N_130ctc_loss_zero_padded_gradientsIdEEvPT_PKlllllll, .Lfunc_end7-_ZN2at6native12_GLOBAL__N_130ctc_loss_zero_padded_gradientsIdEEvPT_PKlllllll
                                        ; -- End function
	.set _ZN2at6native12_GLOBAL__N_130ctc_loss_zero_padded_gradientsIdEEvPT_PKlllllll.num_vgpr, 12
	.set _ZN2at6native12_GLOBAL__N_130ctc_loss_zero_padded_gradientsIdEEvPT_PKlllllll.num_agpr, 0
	.set _ZN2at6native12_GLOBAL__N_130ctc_loss_zero_padded_gradientsIdEEvPT_PKlllllll.numbered_sgpr, 19
	.set _ZN2at6native12_GLOBAL__N_130ctc_loss_zero_padded_gradientsIdEEvPT_PKlllllll.num_named_barrier, 0
	.set _ZN2at6native12_GLOBAL__N_130ctc_loss_zero_padded_gradientsIdEEvPT_PKlllllll.private_seg_size, 0
	.set _ZN2at6native12_GLOBAL__N_130ctc_loss_zero_padded_gradientsIdEEvPT_PKlllllll.uses_vcc, 1
	.set _ZN2at6native12_GLOBAL__N_130ctc_loss_zero_padded_gradientsIdEEvPT_PKlllllll.uses_flat_scratch, 0
	.set _ZN2at6native12_GLOBAL__N_130ctc_loss_zero_padded_gradientsIdEEvPT_PKlllllll.has_dyn_sized_stack, 0
	.set _ZN2at6native12_GLOBAL__N_130ctc_loss_zero_padded_gradientsIdEEvPT_PKlllllll.has_recursion, 0
	.set _ZN2at6native12_GLOBAL__N_130ctc_loss_zero_padded_gradientsIdEEvPT_PKlllllll.has_indirect_call, 0
	.section	.AMDGPU.csdata,"",@progbits
; Kernel info:
; codeLenInByte = 380
; TotalNumSgprs: 23
; NumVgprs: 12
; ScratchSize: 0
; MemoryBound: 0
; FloatMode: 240
; IeeeMode: 1
; LDSByteSize: 0 bytes/workgroup (compile time only)
; SGPRBlocks: 2
; VGPRBlocks: 2
; NumSGPRsForWavesPerEU: 23
; NumVGPRsForWavesPerEU: 12
; Occupancy: 10
; WaveLimiterHint : 0
; COMPUTE_PGM_RSRC2:SCRATCH_EN: 0
; COMPUTE_PGM_RSRC2:USER_SGPR: 6
; COMPUTE_PGM_RSRC2:TRAP_HANDLER: 0
; COMPUTE_PGM_RSRC2:TGID_X_EN: 1
; COMPUTE_PGM_RSRC2:TGID_Y_EN: 1
; COMPUTE_PGM_RSRC2:TGID_Z_EN: 0
; COMPUTE_PGM_RSRC2:TIDIG_COMP_CNT: 1
	.section	.text._ZN2at6native12_GLOBAL__N_137ctc_loss_backward_log_beta_gpu_kernelIdiEEvPT_PKS3_PKllPKT0_S8_lllllllS8_lll,"axG",@progbits,_ZN2at6native12_GLOBAL__N_137ctc_loss_backward_log_beta_gpu_kernelIdiEEvPT_PKS3_PKllPKT0_S8_lllllllS8_lll,comdat
	.globl	_ZN2at6native12_GLOBAL__N_137ctc_loss_backward_log_beta_gpu_kernelIdiEEvPT_PKS3_PKllPKT0_S8_lllllllS8_lll ; -- Begin function _ZN2at6native12_GLOBAL__N_137ctc_loss_backward_log_beta_gpu_kernelIdiEEvPT_PKS3_PKllPKT0_S8_lllllllS8_lll
	.p2align	8
	.type	_ZN2at6native12_GLOBAL__N_137ctc_loss_backward_log_beta_gpu_kernelIdiEEvPT_PKS3_PKllPKT0_S8_lllllllS8_lll,@function
_ZN2at6native12_GLOBAL__N_137ctc_loss_backward_log_beta_gpu_kernelIdiEEvPT_PKS3_PKllPKT0_S8_lllllllS8_lll: ; @_ZN2at6native12_GLOBAL__N_137ctc_loss_backward_log_beta_gpu_kernelIdiEEvPT_PKS3_PKllPKT0_S8_lllllllS8_lll
; %bb.0:
	s_load_dword s2, s[4:5], 0x94
	s_load_dwordx4 s[24:27], s[4:5], 0x70
	s_add_u32 s0, s4, 0x88
	s_addc_u32 s1, s5, 0
	v_mov_b32_e32 v10, 0
	s_waitcnt lgkmcnt(0)
	s_lshr_b32 s2, s2, 16
	s_mul_i32 s7, s7, s2
	v_add_u32_e32 v9, s7, v1
	v_cmp_gt_i64_e32 vcc, s[26:27], v[9:10]
	s_and_saveexec_b64 s[2:3], vcc
	s_cbranch_execz .LBB8_43
; %bb.1:
	s_load_dwordx2 s[2:3], s[4:5], 0x10
	v_lshlrev_b64 v[3:4], 3, v[9:10]
	s_waitcnt lgkmcnt(0)
	v_mov_b32_e32 v2, s3
	v_add_co_u32_e32 v1, vcc, s2, v3
	v_addc_co_u32_e32 v2, vcc, v2, v4, vcc
	global_load_dwordx2 v[1:2], v[1:2], off
	s_waitcnt vmcnt(0)
	v_cmp_ne_u64_e32 vcc, 0, v[1:2]
	s_and_b64 exec, exec, vcc
	s_cbranch_execz .LBB8_43
; %bb.2:
	s_load_dwordx2 s[2:3], s[4:5], 0x28
	s_load_dwordx2 s[6:7], s[4:5], 0x68
	s_waitcnt lgkmcnt(0)
	v_mov_b32_e32 v6, s3
	v_add_co_u32_e32 v5, vcc, s2, v3
	v_addc_co_u32_e32 v6, vcc, v6, v4, vcc
	global_load_dwordx2 v[11:12], v[5:6], off
	v_mov_b32_e32 v5, s7
	v_add_co_u32_e32 v3, vcc, s6, v3
	v_addc_co_u32_e32 v4, vcc, v5, v4, vcc
	global_load_dwordx2 v[3:4], v[3:4], off
	s_load_dwordx8 s[8:15], s[4:5], 0x30
	s_load_dword s2, s[0:1], 0xc
	s_mov_b32 s0, 0
	s_waitcnt lgkmcnt(0)
	s_lshl_b64 s[26:27], s[8:9], 1
	s_and_b32 s33, s2, 0xffff
	s_mov_b32 s1, s27
	s_cmp_lg_u64 s[0:1], 0
	s_cbranch_scc0 .LBB8_44
; %bb.3:
	s_add_u32 s0, s33, 0
	s_addc_u32 s1, 0, 0
	s_xor_b64 s[2:3], s[0:1], 0
	v_cvt_f32_u32_e32 v5, s2
	v_cvt_f32_u32_e32 v6, s3
	s_sub_u32 s8, 0, s2
	s_subb_u32 s9, 0, s3
	v_madmk_f32 v5, v6, 0x4f800000, v5
	v_rcp_f32_e32 v5, v5
	v_mul_f32_e32 v5, 0x5f7ffffc, v5
	v_mul_f32_e32 v6, 0x2f800000, v5
	v_trunc_f32_e32 v6, v6
	v_madmk_f32 v5, v6, 0xcf800000, v5
	v_cvt_u32_f32_e32 v6, v6
	v_cvt_u32_f32_e32 v5, v5
	v_readfirstlane_b32 s16, v6
	v_readfirstlane_b32 s6, v5
	s_mul_i32 s7, s8, s16
	s_mul_hi_u32 s18, s8, s6
	s_mul_i32 s17, s9, s6
	s_add_i32 s7, s18, s7
	s_add_i32 s7, s7, s17
	s_mul_i32 s19, s8, s6
	s_mul_i32 s18, s6, s7
	s_mul_hi_u32 s20, s6, s19
	s_mul_hi_u32 s17, s6, s7
	s_add_u32 s18, s20, s18
	s_addc_u32 s17, 0, s17
	s_mul_hi_u32 s21, s16, s19
	s_mul_i32 s19, s16, s19
	s_add_u32 s18, s18, s19
	s_mul_hi_u32 s20, s16, s7
	s_addc_u32 s17, s17, s21
	s_addc_u32 s18, s20, 0
	s_mul_i32 s7, s16, s7
	s_add_u32 s7, s17, s7
	s_addc_u32 s17, 0, s18
	s_add_u32 s18, s6, s7
	s_cselect_b64 s[6:7], -1, 0
	s_cmp_lg_u64 s[6:7], 0
	s_addc_u32 s16, s16, s17
	s_mul_i32 s6, s8, s16
	s_mul_hi_u32 s7, s8, s18
	s_add_i32 s6, s7, s6
	s_mul_i32 s9, s9, s18
	s_add_i32 s6, s6, s9
	s_mul_i32 s8, s8, s18
	s_mul_hi_u32 s9, s16, s8
	s_mul_i32 s17, s16, s8
	s_mul_i32 s20, s18, s6
	s_mul_hi_u32 s8, s18, s8
	s_mul_hi_u32 s19, s18, s6
	s_add_u32 s8, s8, s20
	s_addc_u32 s19, 0, s19
	s_add_u32 s8, s8, s17
	s_mul_hi_u32 s7, s16, s6
	s_addc_u32 s8, s19, s9
	s_addc_u32 s7, s7, 0
	s_mul_i32 s6, s16, s6
	s_add_u32 s6, s8, s6
	s_addc_u32 s8, 0, s7
	s_add_u32 s17, s18, s6
	s_cselect_b64 s[6:7], -1, 0
	s_cmp_lg_u64 s[6:7], 0
	s_addc_u32 s16, s16, s8
	s_ashr_i32 s6, s27, 31
	s_add_u32 s8, s26, s6
	s_mov_b32 s7, s6
	s_addc_u32 s9, s27, s6
	s_xor_b64 s[8:9], s[8:9], s[6:7]
	s_mul_i32 s19, s8, s16
	s_mul_hi_u32 s20, s8, s17
	s_mul_hi_u32 s18, s8, s16
	s_add_u32 s19, s20, s19
	s_addc_u32 s18, 0, s18
	s_mul_hi_u32 s21, s9, s17
	s_mul_i32 s17, s9, s17
	s_add_u32 s17, s19, s17
	s_mul_hi_u32 s20, s9, s16
	s_addc_u32 s17, s18, s21
	s_addc_u32 s18, s20, 0
	s_mul_i32 s16, s9, s16
	s_add_u32 s16, s17, s16
	s_addc_u32 s17, 0, s18
	s_mul_i32 s17, s2, s17
	s_mul_hi_u32 s18, s2, s16
	s_add_i32 s17, s18, s17
	s_mul_i32 s18, s3, s16
	s_add_i32 s20, s17, s18
	s_sub_i32 s18, s9, s20
	s_mul_i32 s16, s2, s16
	s_sub_u32 s8, s8, s16
	s_cselect_b64 s[16:17], -1, 0
	s_cmp_lg_u64 s[16:17], 0
	s_subb_u32 s21, s18, s3
	s_sub_u32 s22, s8, s2
	s_cselect_b64 s[18:19], -1, 0
	s_cmp_lg_u64 s[18:19], 0
	s_subb_u32 s23, s21, 0
	s_cmp_ge_u32 s23, s3
	s_cselect_b32 s28, -1, 0
	s_cmp_ge_u32 s22, s2
	s_cselect_b32 s29, -1, 0
	s_cmp_eq_u32 s23, s3
	s_cselect_b32 s28, s29, s28
	s_cmp_lg_u64 s[18:19], 0
	s_subb_u32 s21, s21, s3
	s_sub_u32 s29, s22, s2
	s_cselect_b64 s[18:19], -1, 0
	s_cmp_lg_u64 s[18:19], 0
	s_subb_u32 s18, s21, 0
	s_cmp_lg_u32 s28, 0
	s_cselect_b32 s19, s29, s22
	s_cselect_b32 s18, s18, s23
	s_cmp_lg_u64 s[16:17], 0
	s_subb_u32 s9, s9, s20
	s_cmp_ge_u32 s9, s3
	s_cselect_b32 s16, -1, 0
	s_cmp_ge_u32 s8, s2
	s_cselect_b32 s2, -1, 0
	s_cmp_eq_u32 s9, s3
	s_cselect_b32 s2, s2, s16
	s_cmp_lg_u32 s2, 0
	s_cselect_b32 s3, s18, s9
	s_cselect_b32 s2, s19, s8
	s_xor_b64 s[2:3], s[2:3], s[6:7]
	s_sub_u32 s8, s2, s6
	s_subb_u32 s9, s3, s6
	s_cbranch_execnz .LBB8_5
.LBB8_4:
	v_cvt_f32_u32_e32 v5, s33
	s_sub_i32 s0, 0, s33
	s_mov_b32 s9, 0
	v_rcp_iflag_f32_e32 v5, v5
	v_mul_f32_e32 v5, 0x4f7ffffe, v5
	v_cvt_u32_f32_e32 v5, v5
	v_readfirstlane_b32 s1, v5
	s_mul_i32 s0, s0, s1
	s_mul_hi_u32 s0, s1, s0
	s_add_i32 s1, s1, s0
	s_mul_hi_u32 s0, s26, s1
	s_mul_i32 s0, s0, s33
	s_sub_i32 s0, s26, s0
	s_sub_i32 s1, s0, s33
	s_cmp_ge_u32 s0, s33
	s_cselect_b32 s0, s1, s0
	s_sub_i32 s1, s0, s33
	s_cmp_ge_u32 s0, s33
	s_cselect_b32 s8, s1, s0
.LBB8_5:
	s_sub_u32 s34, s26, s8
	s_subb_u32 s35, s27, s9
	v_cmp_lt_i64_e64 s[0:1], s[34:35], 0
	s_and_b64 vcc, exec, s[0:1]
	s_cbranch_vccnz .LBB8_43
; %bb.6:
	v_mad_u64_u32 v[7:8], s[0:1], s12, v9, 0
	s_load_dwordx2 s[0:1], s[4:5], 0x20
	s_load_dwordx4 s[28:31], s[4:5], 0x0
	v_mov_b32_e32 v5, v8
	v_mad_u64_u32 v[5:6], s[2:3], s13, v9, v[5:6]
	s_waitcnt vmcnt(0)
	v_lshlrev_b64 v[13:14], 2, v[3:4]
	v_add_co_u32_e32 v3, vcc, -1, v1
	v_addc_co_u32_e32 v4, vcc, -1, v2, vcc
	v_mul_lo_u32 v10, v4, s10
	v_mul_lo_u32 v17, v3, s11
	v_mad_u64_u32 v[15:16], s[2:3], v3, s10, 0
	v_mov_b32_e32 v8, v5
	s_waitcnt lgkmcnt(0)
	v_mov_b32_e32 v6, s1
	v_add_co_u32_e32 v43, vcc, s0, v13
	v_lshlrev_b64 v[19:20], 3, v[7:8]
	v_addc_co_u32_e32 v44, vcc, v6, v14, vcc
	v_lshlrev_b64 v[5:6], 1, v[11:12]
	v_add3_u32 v16, v16, v17, v10
	v_mov_b32_e32 v7, s31
	v_add_co_u32_e32 v10, vcc, s30, v19
	v_addc_co_u32_e32 v17, vcc, v7, v20, vcc
	v_add_co_u32_e32 v7, vcc, -1, v5
	v_addc_co_u32_e32 v8, vcc, -1, v6, vcc
	v_lshlrev_b64 v[13:14], 3, v[15:16]
	v_lshrrev_b32_e32 v15, 1, v8
	v_mul_lo_u32 v18, v15, s24
	v_alignbit_b32 v15, v8, v7, 1
	s_load_dwordx8 s[16:23], s[4:5], 0x50
	v_mul_lo_u32 v21, v15, s25
	v_mad_u64_u32 v[15:16], s[0:1], v15, s24, 0
	v_add_co_u32_e32 v32, vcc, v10, v13
	v_add3_u32 v16, v16, v21, v18
	s_waitcnt lgkmcnt(0)
	v_mad_u64_u32 v[21:22], s[0:1], s16, v9, 0
	v_addc_co_u32_e32 v33, vcc, v17, v14, vcc
	v_lshlrev_b64 v[13:14], 2, v[15:16]
	v_mov_b32_e32 v10, s27
	v_add_co_u32_e32 v15, vcc, s26, v0
	v_addc_co_u32_e32 v31, vcc, 0, v10, vcc
	v_mov_b32_e32 v10, s9
	v_subrev_co_u32_e64 v15, s[6:7], s8, v15
	v_subb_co_u32_e64 v16, vcc, v31, v10, s[6:7]
	v_mov_b32_e32 v10, v22
	v_mad_u64_u32 v[9:10], s[0:1], s17, v9, v[10:11]
	v_mul_lo_u32 v25, s21, v15
	v_mul_lo_u32 v26, s20, v16
	v_mad_u64_u32 v[17:18], s[0:1], s20, v15, 0
	v_mul_lo_u32 v10, s19, v3
	v_mul_lo_u32 v22, s18, v4
	v_mad_u64_u32 v[23:24], s[0:1], s18, v3, 0
	v_add3_u32 v18, v18, v26, v25
	v_add_co_u32_e32 v13, vcc, v43, v13
	v_add3_u32 v24, v24, v22, v10
	v_mov_b32_e32 v22, v9
	v_lshlrev_b64 v[17:18], 3, v[17:18]
	v_lshlrev_b64 v[9:10], 3, v[23:24]
	s_load_dwordx2 s[12:13], s[4:5], 0x80
	v_addc_co_u32_e32 v14, vcc, v44, v14, vcc
	v_add_co_u32_e32 v23, vcc, v17, v9
	v_addc_co_u32_e32 v24, vcc, v18, v10, vcc
	v_lshlrev_b64 v[9:10], 3, v[21:22]
	s_waitcnt lgkmcnt(0)
	s_mul_i32 s0, s12, s15
	v_add_co_u32_e32 v21, vcc, v23, v9
	s_mul_hi_u32 s1, s12, s14
	v_addc_co_u32_e32 v22, vcc, v24, v10, vcc
	s_add_i32 s0, s1, s0
	s_mul_i32 s1, s13, s14
	v_mov_b32_e32 v23, s29
	v_add_co_u32_e32 v21, vcc, s28, v21
	s_add_i32 s1, s0, s1
	s_mul_i32 s0, s12, s14
	v_addc_co_u32_e32 v22, vcc, v23, v22, vcc
	s_lshl_b64 s[0:1], s[0:1], 3
	v_mov_b32_e32 v24, s1
	v_add_co_u32_e32 v23, vcc, s0, v32
	v_addc_co_u32_e32 v24, vcc, v33, v24, vcc
	s_mul_i32 s0, s21, s33
	s_mul_hi_u32 s1, s20, s33
	s_add_i32 s1, s1, s0
	s_mul_i32 s0, s20, s33
	v_sub_co_u32_e32 v25, vcc, v5, v0
	s_lshl_b64 s[0:1], s[0:1], 3
	v_subbrev_co_u32_e32 v26, vcc, 0, v6, vcc
	s_sub_u32 s90, 0, s0
	v_add_co_u32_e32 v27, vcc, -1, v25
	s_subb_u32 s91, 0, s1
	v_addc_co_u32_e32 v28, vcc, -1, v26, vcc
	s_mov_b64 s[0:1], s[34:35]
	s_branch .LBB8_8
.LBB8_7:                                ;   in Loop: Header=BB8_8 Depth=1
	s_or_b64 exec, exec, s[2:3]
	s_sub_u32 s0, s0, s33
	s_subb_u32 s1, s1, 0
	s_waitcnt vmcnt(0)
	v_mov_b32_e32 v29, s91
	v_cmp_lt_i64_e64 s[2:3], s[0:1], 0
	v_add_co_u32_e32 v21, vcc, s90, v21
	v_addc_co_u32_e32 v22, vcc, v22, v29, vcc
	s_and_b64 vcc, exec, s[2:3]
	s_cbranch_vccnz .LBB8_16
.LBB8_8:                                ; =>This Inner Loop Header: Depth=1
	v_cmp_ne_u64_e32 vcc, s[0:1], v[25:26]
                                        ; implicit-def: $vgpr29_vgpr30
	s_and_saveexec_b64 s[2:3], vcc
	s_xor_b64 s[2:3], exec, s[2:3]
	s_cbranch_execz .LBB8_12
; %bb.9:                                ;   in Loop: Header=BB8_8 Depth=1
	v_cmp_eq_u64_e32 vcc, s[0:1], v[27:28]
	v_mov_b32_e32 v29, 0
	v_mov_b32_e32 v30, 0xfff00000
	s_and_saveexec_b64 s[16:17], vcc
	s_cbranch_execz .LBB8_11
; %bb.10:                               ;   in Loop: Header=BB8_8 Depth=1
	global_load_dword v29, v[13:14], off
	s_waitcnt vmcnt(0)
	v_ashrrev_i32_e32 v34, 31, v29
	v_mul_lo_u32 v35, s15, v29
	v_mad_u64_u32 v[29:30], s[22:23], s14, v29, 0
	v_mul_lo_u32 v34, s14, v34
	v_add3_u32 v30, v30, v34, v35
	v_lshlrev_b64 v[29:30], 3, v[29:30]
	v_add_co_u32_e32 v29, vcc, v32, v29
	v_addc_co_u32_e32 v30, vcc, v33, v30, vcc
	global_load_dwordx2 v[29:30], v[29:30], off
.LBB8_11:                               ;   in Loop: Header=BB8_8 Depth=1
	s_or_b64 exec, exec, s[16:17]
.LBB8_12:                               ;   in Loop: Header=BB8_8 Depth=1
	s_andn2_saveexec_b64 s[2:3], s[2:3]
	s_cbranch_execz .LBB8_14
; %bb.13:                               ;   in Loop: Header=BB8_8 Depth=1
	global_load_dwordx2 v[29:30], v[23:24], off
.LBB8_14:                               ;   in Loop: Header=BB8_8 Depth=1
	s_or_b64 exec, exec, s[2:3]
	v_mov_b32_e32 v35, s1
	v_add_co_u32_e32 v34, vcc, s0, v0
	v_addc_co_u32_e32 v35, vcc, 0, v35, vcc
	v_cmp_ge_i64_e32 vcc, s[26:27], v[34:35]
	s_and_saveexec_b64 s[2:3], vcc
	s_cbranch_execz .LBB8_7
; %bb.15:                               ;   in Loop: Header=BB8_8 Depth=1
	s_waitcnt vmcnt(0)
	global_store_dwordx2 v[21:22], v[29:30], off
	s_branch .LBB8_7
.LBB8_16:
	s_load_dwordx2 s[2:3], s[4:5], 0x18
	v_cmp_ne_u64_e64 s[4:5], 0, v[11:12]
                                        ; implicit-def: $vgpr58 : SGPR spill to VGPR lane
	v_cmp_lt_i64_e64 s[0:1], 0, v[11:12]
	v_writelane_b32 v58, s4, 0
	v_writelane_b32 v58, s5, 1
	s_waitcnt lgkmcnt(0)
	s_add_u32 s16, s2, -2
	s_addc_u32 s17, s3, -1
	s_mul_hi_u32 s4, s18, s16
	s_mul_i32 s5, s18, s17
	s_add_i32 s4, s4, s5
	s_mul_i32 s5, s19, s16
	s_add_i32 s5, s4, s5
	s_mul_i32 s4, s18, s16
	s_lshl_b64 s[4:5], s[4:5], 3
	s_add_u32 s8, s28, s4
	s_addc_u32 s4, s29, s5
	v_mov_b32_e32 v14, s4
	s_lshl_b64 s[4:5], s[18:19], 3
	s_sub_u32 s92, 0, s4
	s_subb_u32 s93, 0, s5
	v_cmp_gt_i64_e64 s[22:23], s[2:3], 1
	s_add_u32 s2, s2, -1
	s_addc_u32 s3, s3, -1
	s_mul_i32 s3, s18, s3
	s_mul_hi_u32 s4, s18, s2
	s_add_i32 s3, s4, s3
	s_mul_i32 s4, s19, s2
	s_add_i32 s3, s3, s4
	s_mul_i32 s2, s18, s2
	s_lshl_b64 s[2:3], s[2:3], 3
	v_lshlrev_b64 v[11:12], 3, v[15:16]
	s_add_u32 s2, s28, s2
	v_add_co_u32_e32 v13, vcc, 8, v11
	s_addc_u32 s3, s29, s3
	v_addc_co_u32_e32 v16, vcc, 0, v12, vcc
	v_mov_b32_e32 v12, s3
	v_mov_b32_e32 v11, s2
	v_mad_u64_u32 v[11:12], s[4:5], s20, v13, v[11:12]
	v_mul_lo_u32 v16, s20, v16
	v_mul_lo_u32 v21, s21, v13
	v_add_co_u32_e32 v13, vcc, s8, v17
	v_addc_co_u32_e32 v14, vcc, v14, v18, vcc
	v_add3_u32 v12, v21, v12, v16
	v_mov_b32_e32 v21, s9
	v_subb_co_u32_e64 v21, vcc, v31, v21, s[6:7]
	v_add_co_u32_e32 v15, vcc, 2, v15
	v_addc_co_u32_e32 v21, vcc, 0, v21, vcc
	v_mul_lo_u32 v23, s21, v15
	v_mul_lo_u32 v24, s20, v21
	v_mad_u64_u32 v[21:22], s[4:5], s20, v15, 0
	v_mov_b32_e32 v16, s3
	v_add_co_u32_e32 v15, vcc, s2, v17
	v_add3_u32 v22, v22, v24, v23
	v_addc_co_u32_e32 v16, vcc, v16, v18, vcc
	v_lshlrev_b64 v[17:18], 3, v[21:22]
	v_mov_b32_e32 v21, s3
	v_add_co_u32_e32 v17, vcc, s2, v17
	s_mul_i32 s2, s10, s17
	s_mul_hi_u32 s3, s10, s16
	s_add_i32 s2, s3, s2
	s_mul_i32 s3, s11, s16
	s_add_i32 s3, s2, s3
	s_mul_i32 s2, s10, s16
	s_lshl_b64 s[2:3], s[2:3], 3
	s_add_u32 s2, s30, s2
	v_addc_co_u32_e32 v18, vcc, v21, v18, vcc
	s_addc_u32 s3, s31, s3
	v_mov_b32_e32 v21, s3
	v_add_co_u32_e32 v19, vcc, s2, v19
	s_lshl_b64 s[14:15], s[14:15], 3
	s_lshl_b64 s[2:3], s[10:11], 3
	s_sub_u32 s94, 0, s2
	s_mov_b32 s10, 0
	s_mov_b32 s18, 0x652b82fe
	;; [unrolled: 1-line block ×22, first 2 shown]
	v_addc_co_u32_e32 v20, vcc, v21, v20, vcc
	s_subb_u32 s95, 0, s3
	s_mov_b32 s11, 0xfff00000
	s_mov_b32 s19, 0x3ff71547
	;; [unrolled: 1-line block ×25, first 2 shown]
	s_movk_i32 s2, 0x204
	v_mov_b32_e32 v45, 0x7ff00000
	v_mov_b32_e32 v21, 0x6b47b09a
	;; [unrolled: 1-line block ×5, first 2 shown]
	s_branch .LBB8_18
.LBB8_17:                               ;   in Loop: Header=BB8_18 Depth=1
	v_mov_b32_e32 v23, s91
	v_add_co_u32_e32 v13, vcc, s90, v13
	v_addc_co_u32_e32 v14, vcc, v14, v23, vcc
	v_add_co_u32_e32 v11, vcc, s90, v11
	v_addc_co_u32_e32 v12, vcc, v12, v23, vcc
	s_sub_u32 s34, s34, s33
	v_add_co_u32_e32 v15, vcc, s90, v15
	s_subb_u32 s35, s35, 0
	v_addc_co_u32_e32 v16, vcc, v16, v23, vcc
	v_cmp_lt_i64_e64 s[4:5], s[34:35], 0
	v_add_co_u32_e32 v17, vcc, s90, v17
	v_addc_co_u32_e32 v18, vcc, v18, v23, vcc
	s_and_b64 vcc, exec, s[4:5]
	s_cbranch_vccnz .LBB8_43
.LBB8_18:                               ; =>This Loop Header: Depth=1
                                        ;     Child Loop BB8_29 Depth 2
	v_mov_b32_e32 v23, s35
	v_add_co_u32_e32 v25, vcc, s34, v0
	v_addc_co_u32_e32 v26, vcc, 0, v23, vcc
	v_cmp_le_i64_e64 s[6:7], v[25:26], v[5:6]
	v_mov_b32_e32 v28, s13
	s_and_b64 s[4:5], s[0:1], s[6:7]
	v_mov_b32_e32 v27, s12
	s_mov_b64 s[76:77], 0
	s_and_saveexec_b64 s[8:9], s[4:5]
	s_cbranch_execz .LBB8_26
; %bb.19:                               ;   in Loop: Header=BB8_18 Depth=1
	v_and_b32_e32 v23, 1, v25
	v_mov_b32_e32 v28, s13
	v_cmp_eq_u32_e32 vcc, 1, v23
	v_mov_b32_e32 v27, s12
	s_and_saveexec_b64 s[76:77], vcc
	s_cbranch_execz .LBB8_21
; %bb.20:                               ;   in Loop: Header=BB8_18 Depth=1
	v_alignbit_b32 v23, v26, v25, 1
	v_lshrrev_b32_e32 v28, 1, v26
	v_mul_lo_u32 v27, v23, s25
	v_mad_u64_u32 v[23:24], s[4:5], v23, s24, 0
	v_mul_lo_u32 v28, v28, s24
	v_add3_u32 v24, v24, v27, v28
	v_lshlrev_b64 v[23:24], 2, v[23:24]
	v_add_co_u32_e64 v23, s[4:5], v43, v23
	v_addc_co_u32_e64 v24, s[4:5], v44, v24, s[4:5]
	global_load_dword v27, v[23:24], off
	s_waitcnt vmcnt(0)
	v_ashrrev_i32_e32 v28, 31, v27
.LBB8_21:                               ;   in Loop: Header=BB8_18 Depth=1
	s_or_b64 exec, exec, s[76:77]
	v_cmp_lt_i64_e64 s[4:5], v[25:26], v[7:8]
	s_mov_b64 s[78:79], 0
	s_and_saveexec_b64 s[76:77], s[4:5]
	s_cbranch_execz .LBB8_25
; %bb.22:                               ;   in Loop: Header=BB8_18 Depth=1
	v_mov_b32_e32 v24, s13
	v_mov_b32_e32 v23, s12
	s_and_saveexec_b64 s[4:5], vcc
	s_cbranch_execz .LBB8_24
; %bb.23:                               ;   in Loop: Header=BB8_18 Depth=1
	v_add_co_u32_e32 v23, vcc, 2, v25
	v_addc_co_u32_e32 v29, vcc, 0, v26, vcc
	v_alignbit_b32 v23, v29, v23, 1
	v_lshrrev_b32_e32 v29, 1, v29
	v_mul_lo_u32 v30, v23, s25
	v_mad_u64_u32 v[23:24], s[78:79], v23, s24, 0
	v_mul_lo_u32 v29, v29, s24
	v_add3_u32 v24, v24, v30, v29
	v_lshlrev_b64 v[23:24], 2, v[23:24]
	v_add_co_u32_e32 v23, vcc, v43, v23
	v_addc_co_u32_e32 v24, vcc, v44, v24, vcc
	global_load_dword v23, v[23:24], off
	s_waitcnt vmcnt(0)
	v_ashrrev_i32_e32 v24, 31, v23
.LBB8_24:                               ;   in Loop: Header=BB8_18 Depth=1
	s_or_b64 exec, exec, s[4:5]
	v_cmp_ne_u64_e32 vcc, v[23:24], v[27:28]
	s_and_b64 s[78:79], vcc, exec
.LBB8_25:                               ;   in Loop: Header=BB8_18 Depth=1
	s_or_b64 exec, exec, s[76:77]
	s_and_b64 s[76:77], s[78:79], exec
.LBB8_26:                               ;   in Loop: Header=BB8_18 Depth=1
	s_or_b64 exec, exec, s[8:9]
	s_andn2_b64 vcc, exec, s[22:23]
	s_cbranch_vccnz .LBB8_17
; %bb.27:                               ;   in Loop: Header=BB8_18 Depth=1
	v_mad_u64_u32 v[23:24], s[8:9], s14, v27, v[19:20]
	v_mul_lo_u32 v28, s14, v28
	v_mul_lo_u32 v27, s15, v27
	v_cmp_gt_i64_e64 s[4:5], 1, v[25:26]
	v_readlane_b32 s8, v58, 0
	v_readlane_b32 s9, v58, 1
	v_cmp_lt_i64_e32 vcc, s[26:27], v[25:26]
	s_or_b64 s[8:9], s[8:9], s[4:5]
	v_cmp_lt_i64_e64 s[4:5], v[25:26], v[5:6]
	v_add3_u32 v24, v27, v24, v28
	v_mov_b32_e32 v26, v18
	v_mov_b32_e32 v28, v16
	v_mov_b32_e32 v30, v12
	v_mov_b32_e32 v32, v14
	s_and_b64 s[78:79], s[8:9], s[6:7]
	s_xor_b64 s[80:81], s[6:7], -1
	v_mov_b32_e32 v25, v17
	v_mov_b32_e32 v27, v15
	;; [unrolled: 1-line block ×4, first 2 shown]
	s_mov_b64 s[82:83], s[16:17]
	s_branch .LBB8_29
.LBB8_28:                               ;   in Loop: Header=BB8_29 Depth=2
	s_or_b64 exec, exec, s[8:9]
	v_mov_b32_e32 v33, s93
	v_add_co_u32_e64 v31, s[6:7], s92, v31
	v_addc_co_u32_e64 v32, s[6:7], v32, v33, s[6:7]
	v_add_co_u32_e64 v29, s[6:7], s92, v29
	v_addc_co_u32_e64 v30, s[6:7], v30, v33, s[6:7]
	;; [unrolled: 2-line block ×3, first 2 shown]
	v_add_co_u32_e64 v25, s[6:7], s92, v25
	s_add_u32 s82, s82, -1
	v_addc_co_u32_e64 v26, s[6:7], v26, v33, s[6:7]
	s_addc_u32 s83, s83, -1
	v_mov_b32_e32 v33, s95
	v_add_co_u32_e64 v23, s[6:7], s94, v23
	s_cmp_eq_u64 s[82:83], -1
	v_addc_co_u32_e64 v24, s[6:7], v24, v33, s[6:7]
	s_cbranch_scc1 .LBB8_17
.LBB8_29:                               ;   Parent Loop BB8_18 Depth=1
                                        ; =>  This Inner Loop Header: Depth=2
	v_cmp_ge_i64_e64 s[6:7], s[82:83], v[3:4]
	s_mov_b64 s[84:85], 0
	s_or_b64 s[6:7], s[80:81], s[6:7]
	s_waitcnt vmcnt(0)
	s_barrier
	s_and_saveexec_b64 s[8:9], s[6:7]
	s_xor_b64 s[8:9], exec, s[8:9]
; %bb.30:                               ;   in Loop: Header=BB8_29 Depth=2
	v_cmp_lt_i64_e64 s[6:7], s[82:83], v[1:2]
	s_and_b64 s[6:7], s[6:7], s[78:79]
	s_nor_b64 s[6:7], vcc, s[6:7]
	s_and_b64 s[84:85], s[6:7], exec
; %bb.31:                               ;   in Loop: Header=BB8_29 Depth=2
	s_or_saveexec_b64 s[86:87], s[8:9]
	v_mov_b32_e32 v33, 0
	v_mov_b32_e32 v34, 0xfff00000
	s_xor_b64 exec, exec, s[86:87]
	s_cbranch_execz .LBB8_41
; %bb.32:                               ;   in Loop: Header=BB8_29 Depth=2
	v_add_co_u32_e64 v33, s[6:7], v27, v9
	v_addc_co_u32_e64 v34, s[6:7], v28, v10, s[6:7]
	global_load_dwordx2 v[39:40], v[33:34], off
	v_mov_b32_e32 v35, 0
	v_mov_b32_e32 v37, 0
	;; [unrolled: 1-line block ×4, first 2 shown]
	s_waitcnt vmcnt(0)
	v_mov_b32_e32 v33, v39
	v_mov_b32_e32 v34, v40
	s_and_saveexec_b64 s[8:9], s[4:5]
	s_cbranch_execz .LBB8_36
; %bb.33:                               ;   in Loop: Header=BB8_29 Depth=2
	v_add_co_u32_e64 v33, s[6:7], v29, v9
	v_addc_co_u32_e64 v34, s[6:7], v30, v10, s[6:7]
	global_load_dwordx2 v[37:38], v[33:34], off
	v_mov_b32_e32 v33, v39
	v_mov_b32_e32 v34, v40
	s_waitcnt vmcnt(0)
	v_cmp_gt_f64_e64 s[6:7], v[37:38], v[39:40]
	s_and_saveexec_b64 s[88:89], s[6:7]
; %bb.34:                               ;   in Loop: Header=BB8_29 Depth=2
	v_mov_b32_e32 v33, v37
	v_mov_b32_e32 v34, v38
; %bb.35:                               ;   in Loop: Header=BB8_29 Depth=2
	s_or_b64 exec, exec, s[88:89]
.LBB8_36:                               ;   in Loop: Header=BB8_29 Depth=2
	s_or_b64 exec, exec, s[8:9]
	s_and_saveexec_b64 s[8:9], s[76:77]
	s_cbranch_execz .LBB8_40
; %bb.37:                               ;   in Loop: Header=BB8_29 Depth=2
	v_add_co_u32_e64 v35, s[6:7], v25, v9
	v_addc_co_u32_e64 v36, s[6:7], v26, v10, s[6:7]
	global_load_dwordx2 v[35:36], v[35:36], off
	s_waitcnt vmcnt(0)
	v_cmp_gt_f64_e64 s[6:7], v[35:36], v[33:34]
	s_and_saveexec_b64 s[88:89], s[6:7]
; %bb.38:                               ;   in Loop: Header=BB8_29 Depth=2
	v_mov_b32_e32 v33, v35
	v_mov_b32_e32 v34, v36
; %bb.39:                               ;   in Loop: Header=BB8_29 Depth=2
	s_or_b64 exec, exec, s[88:89]
.LBB8_40:                               ;   in Loop: Header=BB8_29 Depth=2
	s_or_b64 exec, exec, s[8:9]
	v_cmp_neq_f64_e64 s[6:7], s[10:11], v[33:34]
	s_mov_b32 s71, s59
	s_mov_b32 s72, s20
	;; [unrolled: 1-line block ×3, first 2 shown]
	s_or_b64 s[84:85], s[84:85], exec
	v_cndmask_b32_e64 v34, 0, v34, s[6:7]
	v_cndmask_b32_e64 v33, 0, v33, s[6:7]
	v_add_f64 v[41:42], v[39:40], -v[33:34]
	v_add_f64 v[37:38], v[37:38], -v[33:34]
	;; [unrolled: 1-line block ×3, first 2 shown]
	v_mul_f64 v[39:40], v[41:42], s[18:19]
	v_cmp_nlt_f64_e64 s[6:7], s[54:55], v[41:42]
	v_cmp_ngt_f64_e64 s[8:9], s[56:57], v[41:42]
	v_rndne_f64_e32 v[48:49], v[39:40]
	v_fma_f64 v[39:40], v[48:49], s[20:21], v[41:42]
	v_fma_f64 v[50:51], v[48:49], s[28:29], v[39:40]
	v_mov_b32_e32 v40, s31
	v_mov_b32_e32 v39, s30
	v_cvt_i32_f64_e32 v48, v[48:49]
	v_fma_f64 v[52:53], v[50:51], s[36:37], v[39:40]
	v_fma_f64 v[52:53], v[50:51], v[52:53], s[38:39]
	;; [unrolled: 1-line block ×9, first 2 shown]
	v_fma_f64 v[52:53], v[50:51], v[52:53], 1.0
	v_fma_f64 v[50:51], v[50:51], v[52:53], 1.0
	v_ldexp_f64 v[48:49], v[50:51], v48
	v_cndmask_b32_e64 v49, v45, v49, s[6:7]
	s_and_b64 s[6:7], s[8:9], s[6:7]
	v_cndmask_b32_e64 v41, 0, v48, s[6:7]
	v_cndmask_b32_e64 v42, 0, v49, s[8:9]
	v_mul_f64 v[48:49], v[37:38], s[18:19]
	v_cmp_nlt_f64_e64 s[6:7], s[54:55], v[37:38]
	v_cmp_ngt_f64_e64 s[8:9], s[56:57], v[37:38]
	v_rndne_f64_e32 v[48:49], v[48:49]
	v_fma_f64 v[50:51], v[48:49], s[20:21], v[37:38]
	v_fma_f64 v[50:51], v[48:49], s[28:29], v[50:51]
	v_cvt_i32_f64_e32 v48, v[48:49]
	v_fma_f64 v[52:53], v[50:51], s[36:37], v[39:40]
	v_fma_f64 v[52:53], v[50:51], v[52:53], s[38:39]
	;; [unrolled: 1-line block ×9, first 2 shown]
	v_fma_f64 v[52:53], v[50:51], v[52:53], 1.0
	v_fma_f64 v[50:51], v[50:51], v[52:53], 1.0
	v_ldexp_f64 v[48:49], v[50:51], v48
	v_cndmask_b32_e64 v49, v45, v49, s[6:7]
	s_and_b64 s[6:7], s[8:9], s[6:7]
	v_cndmask_b32_e64 v37, 0, v48, s[6:7]
	v_cndmask_b32_e64 v38, 0, v49, s[8:9]
	v_add_f64 v[37:38], v[41:42], v[37:38]
	v_mul_f64 v[41:42], v[35:36], s[18:19]
	v_cmp_nlt_f64_e64 s[6:7], s[54:55], v[35:36]
	v_cmp_ngt_f64_e64 s[8:9], s[56:57], v[35:36]
	v_rndne_f64_e32 v[41:42], v[41:42]
	v_fma_f64 v[48:49], v[41:42], s[20:21], v[35:36]
	v_fma_f64 v[48:49], v[41:42], s[28:29], v[48:49]
	v_cvt_i32_f64_e32 v41, v[41:42]
	v_fma_f64 v[39:40], v[48:49], s[36:37], v[39:40]
	v_fma_f64 v[39:40], v[48:49], v[39:40], s[38:39]
	;; [unrolled: 1-line block ×9, first 2 shown]
	v_fma_f64 v[39:40], v[48:49], v[39:40], 1.0
	v_fma_f64 v[39:40], v[48:49], v[39:40], 1.0
	v_ldexp_f64 v[39:40], v[39:40], v41
	v_cndmask_b32_e64 v40, v45, v40, s[6:7]
	s_and_b64 s[6:7], s[8:9], s[6:7]
	v_cndmask_b32_e64 v35, 0, v39, s[6:7]
	v_cndmask_b32_e64 v36, 0, v40, s[8:9]
	v_add_f64 v[35:36], v[35:36], v[37:38]
	v_frexp_mant_f64_e32 v[37:38], v[35:36]
	v_frexp_exp_i32_f64_e32 v40, v[35:36]
	v_cmp_gt_f64_e64 s[6:7], s[58:59], v[37:38]
	v_cndmask_b32_e64 v39, 0, 1, s[6:7]
	v_ldexp_f64 v[38:39], v[37:38], v39
	v_subbrev_co_u32_e64 v37, s[6:7], 0, v40, s[6:7]
	v_cmp_class_f64_e64 s[6:7], v[35:36], s2
	v_add_f64 v[48:49], v[38:39], 1.0
	v_add_f64 v[40:41], v[38:39], -1.0
	v_add_f64 v[50:51], v[48:49], -1.0
	v_add_f64 v[38:39], v[38:39], -v[50:51]
	v_rcp_f64_e32 v[50:51], v[48:49]
	v_fma_f64 v[52:53], -v[48:49], v[50:51], 1.0
	v_fma_f64 v[50:51], v[52:53], v[50:51], v[50:51]
	v_fma_f64 v[52:53], -v[48:49], v[50:51], 1.0
	v_fma_f64 v[50:51], v[52:53], v[50:51], v[50:51]
	v_mul_f64 v[52:53], v[40:41], v[50:51]
	v_mul_f64 v[54:55], v[48:49], v[52:53]
	v_fma_f64 v[48:49], v[52:53], v[48:49], -v[54:55]
	v_fma_f64 v[38:39], v[52:53], v[38:39], v[48:49]
	v_add_f64 v[48:49], v[54:55], v[38:39]
	v_add_f64 v[56:57], v[40:41], -v[48:49]
	v_add_f64 v[54:55], v[48:49], -v[54:55]
	;; [unrolled: 1-line block ×5, first 2 shown]
	v_add_f64 v[38:39], v[38:39], v[40:41]
	v_add_f64 v[38:39], v[56:57], v[38:39]
	v_mul_f64 v[38:39], v[50:51], v[38:39]
	v_add_f64 v[40:41], v[52:53], v[38:39]
	v_add_f64 v[48:49], v[40:41], -v[52:53]
	v_ldexp_f64 v[52:53], v[40:41], 1
	v_add_f64 v[38:39], v[38:39], -v[48:49]
	v_mul_f64 v[48:49], v[40:41], v[40:41]
	v_ldexp_f64 v[38:39], v[38:39], 1
	v_fma_f64 v[50:51], v[48:49], s[60:61], v[21:22]
	v_mul_f64 v[40:41], v[40:41], v[48:49]
	v_fma_f64 v[50:51], v[48:49], v[50:51], s[62:63]
	v_fma_f64 v[50:51], v[48:49], v[50:51], s[64:65]
	;; [unrolled: 1-line block ×5, first 2 shown]
	v_mul_f64 v[40:41], v[40:41], v[50:51]
	v_add_f64 v[48:49], v[52:53], v[40:41]
	v_add_f64 v[50:51], v[48:49], -v[52:53]
	v_add_f64 v[40:41], v[40:41], -v[50:51]
	v_add_f64 v[38:39], v[38:39], v[40:41]
	v_add_f64 v[40:41], v[48:49], v[38:39]
	v_add_f64 v[48:49], v[40:41], -v[48:49]
	v_add_f64 v[38:39], v[38:39], -v[48:49]
	v_cvt_f64_i32_e32 v[48:49], v37
	v_mul_f64 v[50:51], v[48:49], s[72:73]
	v_fma_f64 v[52:53], v[48:49], s[72:73], -v[50:51]
	v_fma_f64 v[48:49], v[48:49], s[74:75], v[52:53]
	v_add_f64 v[52:53], v[50:51], v[48:49]
	v_add_f64 v[50:51], v[52:53], -v[50:51]
	v_add_f64 v[48:49], v[48:49], -v[50:51]
	v_add_f64 v[50:51], v[52:53], v[40:41]
	v_add_f64 v[54:55], v[50:51], -v[52:53]
	v_add_f64 v[56:57], v[50:51], -v[54:55]
	;; [unrolled: 1-line block ×4, first 2 shown]
	v_add_f64 v[40:41], v[40:41], v[52:53]
	v_add_f64 v[52:53], v[48:49], v[38:39]
	v_add_f64 v[54:55], v[52:53], -v[48:49]
	v_add_f64 v[56:57], v[52:53], -v[54:55]
	;; [unrolled: 1-line block ×3, first 2 shown]
	v_add_f64 v[39:40], v[52:53], v[40:41]
	v_add_f64 v[48:49], v[48:49], -v[56:57]
	v_add_f64 v[41:42], v[50:51], v[39:40]
	v_add_f64 v[37:38], v[37:38], v[48:49]
	v_add_f64 v[48:49], v[41:42], -v[50:51]
	v_add_f64 v[39:40], v[39:40], -v[48:49]
	v_add_f64 v[37:38], v[37:38], v[39:40]
	v_add_f64 v[37:38], v[41:42], v[37:38]
	v_cndmask_b32_e64 v37, v37, v35, s[6:7]
	v_cndmask_b32_e64 v38, v38, v36, s[6:7]
	v_cmp_ngt_f64_e64 s[6:7], 0, v[35:36]
	v_cndmask_b32_e64 v38, v46, v38, s[6:7]
	v_cmp_nge_f64_e64 s[6:7], 0, v[35:36]
	v_cndmask_b32_e64 v37, 0, v37, s[6:7]
	v_cmp_neq_f64_e64 s[6:7], 0, v[35:36]
	global_load_dwordx2 v[35:36], v[23:24], off
	v_cndmask_b32_e64 v38, v47, v38, s[6:7]
	v_add_f64 v[33:34], v[33:34], v[37:38]
	s_waitcnt vmcnt(0)
	v_add_f64 v[33:34], v[35:36], v[33:34]
.LBB8_41:                               ;   in Loop: Header=BB8_29 Depth=2
	s_or_b64 exec, exec, s[86:87]
	s_and_saveexec_b64 s[8:9], s[84:85]
	s_cbranch_execz .LBB8_28
; %bb.42:                               ;   in Loop: Header=BB8_29 Depth=2
	v_add_co_u32_e64 v35, s[6:7], v31, v9
	v_addc_co_u32_e64 v36, s[6:7], v32, v10, s[6:7]
	global_store_dwordx2 v[35:36], v[33:34], off
	s_branch .LBB8_28
.LBB8_43:
	s_endpgm
.LBB8_44:
                                        ; implicit-def: $sgpr8_sgpr9
	s_branch .LBB8_4
	.section	.rodata,"a",@progbits
	.p2align	6, 0x0
	.amdhsa_kernel _ZN2at6native12_GLOBAL__N_137ctc_loss_backward_log_beta_gpu_kernelIdiEEvPT_PKS3_PKllPKT0_S8_lllllllS8_lll
		.amdhsa_group_segment_fixed_size 0
		.amdhsa_private_segment_fixed_size 0
		.amdhsa_kernarg_size 392
		.amdhsa_user_sgpr_count 6
		.amdhsa_user_sgpr_private_segment_buffer 1
		.amdhsa_user_sgpr_dispatch_ptr 0
		.amdhsa_user_sgpr_queue_ptr 0
		.amdhsa_user_sgpr_kernarg_segment_ptr 1
		.amdhsa_user_sgpr_dispatch_id 0
		.amdhsa_user_sgpr_flat_scratch_init 0
		.amdhsa_user_sgpr_private_segment_size 0
		.amdhsa_uses_dynamic_stack 0
		.amdhsa_system_sgpr_private_segment_wavefront_offset 0
		.amdhsa_system_sgpr_workgroup_id_x 1
		.amdhsa_system_sgpr_workgroup_id_y 1
		.amdhsa_system_sgpr_workgroup_id_z 0
		.amdhsa_system_sgpr_workgroup_info 0
		.amdhsa_system_vgpr_workitem_id 1
		.amdhsa_next_free_vgpr 59
		.amdhsa_next_free_sgpr 96
		.amdhsa_reserve_vcc 1
		.amdhsa_reserve_flat_scratch 0
		.amdhsa_float_round_mode_32 0
		.amdhsa_float_round_mode_16_64 0
		.amdhsa_float_denorm_mode_32 3
		.amdhsa_float_denorm_mode_16_64 3
		.amdhsa_dx10_clamp 1
		.amdhsa_ieee_mode 1
		.amdhsa_fp16_overflow 0
		.amdhsa_exception_fp_ieee_invalid_op 0
		.amdhsa_exception_fp_denorm_src 0
		.amdhsa_exception_fp_ieee_div_zero 0
		.amdhsa_exception_fp_ieee_overflow 0
		.amdhsa_exception_fp_ieee_underflow 0
		.amdhsa_exception_fp_ieee_inexact 0
		.amdhsa_exception_int_div_zero 0
	.end_amdhsa_kernel
	.section	.text._ZN2at6native12_GLOBAL__N_137ctc_loss_backward_log_beta_gpu_kernelIdiEEvPT_PKS3_PKllPKT0_S8_lllllllS8_lll,"axG",@progbits,_ZN2at6native12_GLOBAL__N_137ctc_loss_backward_log_beta_gpu_kernelIdiEEvPT_PKS3_PKllPKT0_S8_lllllllS8_lll,comdat
.Lfunc_end8:
	.size	_ZN2at6native12_GLOBAL__N_137ctc_loss_backward_log_beta_gpu_kernelIdiEEvPT_PKS3_PKllPKT0_S8_lllllllS8_lll, .Lfunc_end8-_ZN2at6native12_GLOBAL__N_137ctc_loss_backward_log_beta_gpu_kernelIdiEEvPT_PKS3_PKllPKT0_S8_lllllllS8_lll
                                        ; -- End function
	.set _ZN2at6native12_GLOBAL__N_137ctc_loss_backward_log_beta_gpu_kernelIdiEEvPT_PKS3_PKllPKT0_S8_lllllllS8_lll.num_vgpr, 59
	.set _ZN2at6native12_GLOBAL__N_137ctc_loss_backward_log_beta_gpu_kernelIdiEEvPT_PKS3_PKllPKT0_S8_lllllllS8_lll.num_agpr, 0
	.set _ZN2at6native12_GLOBAL__N_137ctc_loss_backward_log_beta_gpu_kernelIdiEEvPT_PKS3_PKllPKT0_S8_lllllllS8_lll.numbered_sgpr, 96
	.set _ZN2at6native12_GLOBAL__N_137ctc_loss_backward_log_beta_gpu_kernelIdiEEvPT_PKS3_PKllPKT0_S8_lllllllS8_lll.num_named_barrier, 0
	.set _ZN2at6native12_GLOBAL__N_137ctc_loss_backward_log_beta_gpu_kernelIdiEEvPT_PKS3_PKllPKT0_S8_lllllllS8_lll.private_seg_size, 0
	.set _ZN2at6native12_GLOBAL__N_137ctc_loss_backward_log_beta_gpu_kernelIdiEEvPT_PKS3_PKllPKT0_S8_lllllllS8_lll.uses_vcc, 1
	.set _ZN2at6native12_GLOBAL__N_137ctc_loss_backward_log_beta_gpu_kernelIdiEEvPT_PKS3_PKllPKT0_S8_lllllllS8_lll.uses_flat_scratch, 0
	.set _ZN2at6native12_GLOBAL__N_137ctc_loss_backward_log_beta_gpu_kernelIdiEEvPT_PKS3_PKllPKT0_S8_lllllllS8_lll.has_dyn_sized_stack, 0
	.set _ZN2at6native12_GLOBAL__N_137ctc_loss_backward_log_beta_gpu_kernelIdiEEvPT_PKS3_PKllPKT0_S8_lllllllS8_lll.has_recursion, 0
	.set _ZN2at6native12_GLOBAL__N_137ctc_loss_backward_log_beta_gpu_kernelIdiEEvPT_PKS3_PKllPKT0_S8_lllllllS8_lll.has_indirect_call, 0
	.section	.AMDGPU.csdata,"",@progbits
; Kernel info:
; codeLenInByte = 4568
; TotalNumSgprs: 100
; NumVgprs: 59
; ScratchSize: 0
; MemoryBound: 0
; FloatMode: 240
; IeeeMode: 1
; LDSByteSize: 0 bytes/workgroup (compile time only)
; SGPRBlocks: 12
; VGPRBlocks: 14
; NumSGPRsForWavesPerEU: 100
; NumVGPRsForWavesPerEU: 59
; Occupancy: 4
; WaveLimiterHint : 1
; COMPUTE_PGM_RSRC2:SCRATCH_EN: 0
; COMPUTE_PGM_RSRC2:USER_SGPR: 6
; COMPUTE_PGM_RSRC2:TRAP_HANDLER: 0
; COMPUTE_PGM_RSRC2:TGID_X_EN: 1
; COMPUTE_PGM_RSRC2:TGID_Y_EN: 1
; COMPUTE_PGM_RSRC2:TGID_Z_EN: 0
; COMPUTE_PGM_RSRC2:TIDIG_COMP_CNT: 1
	.section	.text._ZN2at6native12_GLOBAL__N_145ctc_loss_backward_collect_nonblank_gpu_kernelIdiEEvPT_PKS3_lS6_S6_S6_PKlPKT0_S8_S6_llllllllllllS8_llb,"axG",@progbits,_ZN2at6native12_GLOBAL__N_145ctc_loss_backward_collect_nonblank_gpu_kernelIdiEEvPT_PKS3_lS6_S6_S6_PKlPKT0_S8_S6_llllllllllllS8_llb,comdat
	.globl	_ZN2at6native12_GLOBAL__N_145ctc_loss_backward_collect_nonblank_gpu_kernelIdiEEvPT_PKS3_lS6_S6_S6_PKlPKT0_S8_S6_llllllllllllS8_llb ; -- Begin function _ZN2at6native12_GLOBAL__N_145ctc_loss_backward_collect_nonblank_gpu_kernelIdiEEvPT_PKS3_lS6_S6_S6_PKlPKT0_S8_S6_llllllllllllS8_llb
	.p2align	8
	.type	_ZN2at6native12_GLOBAL__N_145ctc_loss_backward_collect_nonblank_gpu_kernelIdiEEvPT_PKS3_lS6_S6_S6_PKlPKT0_S8_S6_llllllllllllS8_llb,@function
_ZN2at6native12_GLOBAL__N_145ctc_loss_backward_collect_nonblank_gpu_kernelIdiEEvPT_PKS3_lS6_S6_S6_PKlPKT0_S8_S6_llllllllllllS8_llb: ; @_ZN2at6native12_GLOBAL__N_145ctc_loss_backward_collect_nonblank_gpu_kernelIdiEEvPT_PKS3_lS6_S6_S6_PKlPKT0_S8_S6_llllllllllllS8_llb
; %bb.0:
	s_load_dword s0, s[4:5], 0xdc
	s_load_dwordx4 s[24:27], s[4:5], 0xb8
	v_mov_b32_e32 v3, 0
	s_waitcnt lgkmcnt(0)
	s_lshr_b32 s1, s0, 16
	s_mul_i32 s7, s7, s1
	v_add_u32_e32 v2, s7, v1
	v_cmp_gt_i64_e32 vcc, s[26:27], v[2:3]
	s_and_saveexec_b64 s[2:3], vcc
	s_cbranch_execz .LBB9_7
; %bb.1:
	s_load_dwordx2 s[2:3], s[4:5], 0x40
	v_lshlrev_b64 v[8:9], 3, v[2:3]
	s_and_b32 s0, s0, 0xffff
	s_waitcnt lgkmcnt(0)
	v_mov_b32_e32 v1, s3
	v_add_co_u32_e32 v4, vcc, s2, v8
	v_addc_co_u32_e32 v5, vcc, v1, v9, vcc
	global_load_dwordx2 v[4:5], v[4:5], off
	v_mov_b32_e32 v1, v3
	v_mov_b32_e32 v3, s6
	v_mad_u64_u32 v[10:11], s[0:1], s0, v3, v[0:1]
	s_waitcnt vmcnt(0)
	v_cmp_lt_i64_e32 vcc, v[10:11], v[4:5]
	s_and_b64 exec, exec, vcc
	s_cbranch_execz .LBB9_7
; %bb.2:
	s_load_dwordx2 s[0:1], s[4:5], 0x48
	s_load_dword s6, s[4:5], 0xc8
	s_load_dwordx2 s[2:3], s[4:5], 0x30
	s_waitcnt lgkmcnt(0)
	v_mov_b32_e32 v1, s1
	v_add_co_u32_e32 v0, vcc, s0, v8
	v_addc_co_u32_e32 v1, vcc, v1, v9, vcc
	global_load_dwordx2 v[4:5], v[0:1], off
	v_mov_b32_e32 v1, s3
	v_add_co_u32_e32 v0, vcc, s2, v8
	v_addc_co_u32_e32 v1, vcc, v1, v9, vcc
	global_load_dwordx2 v[6:7], v[0:1], off
	s_mov_b32 s0, 0
	s_mov_b32 s1, 0x7ff00000
	s_bitcmp1_b32 s6, 0
	s_mov_b64 s[6:7], 0
	s_waitcnt vmcnt(1)
	v_cmp_neq_f64_e32 vcc, s[0:1], v[4:5]
	s_cselect_b64 s[0:1], -1, 0
	s_xor_b64 s[2:3], s[0:1], -1
	s_waitcnt vmcnt(0)
	v_cmp_lt_i64_e64 s[0:1], 0, v[6:7]
	s_or_b64 s[2:3], s[2:3], vcc
	s_and_b64 s[0:1], s[2:3], s[0:1]
	s_and_b64 exec, exec, s[0:1]
	s_cbranch_execz .LBB9_7
; %bb.3:
	s_load_dwordx2 s[0:1], s[4:5], 0xb0
	v_mul_lo_u32 v3, v11, s24
	v_mul_lo_u32 v12, v10, s25
	s_mov_b32 s34, 0xfefa39ef
	s_mov_b32 s48, 0x3b39803f
	s_waitcnt lgkmcnt(0)
	v_mov_b32_e32 v1, s1
	v_add_co_u32_e32 v0, vcc, s0, v8
	v_addc_co_u32_e32 v1, vcc, v1, v9, vcc
	global_load_dwordx2 v[0:1], v[0:1], off
	v_mad_u64_u32 v[8:9], s[0:1], v10, s24, 0
	s_load_dwordx8 s[36:43], s[4:5], 0x0
	s_load_dwordx16 s[8:23], s[4:5], 0x50
	s_load_dwordx8 s[24:31], s[4:5], 0x90
	s_load_dwordx2 s[0:1], s[4:5], 0x38
	s_load_dwordx4 s[44:47], s[4:5], 0x20
	v_add3_u32 v9, v9, v12, v3
	v_lshlrev_b64 v[8:9], 2, v[8:9]
	s_waitcnt lgkmcnt(0)
	v_mad_u64_u32 v[12:13], s[2:3], s40, v2, 0
	v_mov_b32_e32 v18, s1
	v_mad_u64_u32 v[14:15], s[2:3], s10, v2, 0
	v_mad_u64_u32 v[16:17], s[2:3], s20, v2, 0
	v_mov_b32_e32 v3, v13
	v_mov_b32_e32 v19, s39
	v_lshlrev_b64 v[10:11], 1, v[10:11]
	v_mov_b32_e32 v22, s37
	v_mov_b32_e32 v24, s43
	s_mov_b32 s4, 0x652b82fe
	s_mov_b32 s50, 0x6a5dcb37
	;; [unrolled: 1-line block ×18, first 2 shown]
	s_waitcnt vmcnt(0)
	v_lshlrev_b64 v[0:1], 2, v[0:1]
	v_add_co_u32_e32 v0, vcc, s0, v0
	v_addc_co_u32_e32 v1, vcc, v18, v1, vcc
	v_add_co_u32_e32 v0, vcc, v0, v8
	v_addc_co_u32_e32 v1, vcc, v1, v9, vcc
	global_load_dword v23, v[0:1], off
	v_mov_b32_e32 v0, v15
	v_mov_b32_e32 v1, v17
	v_mad_u64_u32 v[8:9], s[0:1], s41, v2, v[3:4]
	v_mad_u64_u32 v[17:18], s[0:1], s11, v2, v[0:1]
	;; [unrolled: 1-line block ×3, first 2 shown]
	v_mov_b32_e32 v13, v8
	v_mov_b32_e32 v15, v17
	;; [unrolled: 1-line block ×3, first 2 shown]
	v_lshlrev_b64 v[0:1], 3, v[12:13]
	v_or_b32_e32 v3, 1, v10
	v_add_co_u32_e32 v8, vcc, s38, v0
	v_addc_co_u32_e32 v9, vcc, v19, v1, vcc
	global_load_dwordx2 v[8:9], v[8:9], off
	v_lshlrev_b64 v[12:13], 3, v[14:15]
	v_lshlrev_b64 v[14:15], 3, v[16:17]
	v_mul_lo_u32 v1, v11, s24
	v_mul_lo_u32 v10, v3, s25
	v_mad_u64_u32 v[16:17], s[24:25], v3, s24, 0
	v_mad_u64_u32 v[18:19], s[24:25], s16, v2, 0
	v_add3_u32 v17, v17, v10, v1
	v_add_co_u32_e64 v0, s[0:1], s36, v12
	v_mov_b32_e32 v1, v19
	v_add_co_u32_e64 v12, s[2:3], s42, v14
	v_mul_lo_u32 v14, v11, s30
	v_mad_u64_u32 v[10:11], s[16:17], s17, v2, v[1:2]
	v_mov_b32_e32 v1, s47
	v_mul_lo_u32 v25, v3, s31
	v_mov_b32_e32 v19, v10
	v_lshlrev_b64 v[10:11], 3, v[18:19]
	v_mad_u64_u32 v[18:19], s[16:17], s26, v2, 0
	v_add_co_u32_e32 v26, vcc, s46, v10
	v_addc_co_u32_e32 v27, vcc, v1, v11, vcc
	v_mov_b32_e32 v1, v19
	v_mad_u64_u32 v[1:2], s[24:25], s27, v2, v[1:2]
	v_mad_u64_u32 v[20:21], s[16:17], v3, s30, 0
	v_mov_b32_e32 v19, v1
	v_lshlrev_b64 v[2:3], 3, v[16:17]
	v_lshlrev_b64 v[16:17], 3, v[18:19]
	v_add3_u32 v21, v21, v25, v14
	v_addc_co_u32_e64 v25, vcc, v22, v13, s[0:1]
	v_addc_co_u32_e64 v1, vcc, v24, v15, s[2:3]
	v_mov_b32_e32 v14, s45
	v_add_co_u32_e32 v15, vcc, s44, v16
	v_addc_co_u32_e32 v14, vcc, v14, v17, vcc
	v_add_co_u32_e32 v16, vcc, v12, v2
	v_addc_co_u32_e32 v17, vcc, v1, v3, vcc
	v_lshlrev_b64 v[20:21], 3, v[20:21]
	s_mov_b32 s10, 0x55555511
	v_add_co_u32_e32 v18, vcc, v15, v20
	v_addc_co_u32_e32 v19, vcc, v14, v21, vcc
	s_mov_b32 s20, 11
	s_mov_b32 s36, 0
	;; [unrolled: 1-line block ×6, first 2 shown]
	s_waitcnt vmcnt(1)
	v_ashrrev_i32_e32 v3, 31, v23
	v_mul_lo_u32 v22, s19, v23
	v_mad_u64_u32 v[1:2], s[0:1], s18, v23, 0
	v_mul_lo_u32 v24, s13, v23
	v_mad_u64_u32 v[12:13], s[0:1], s12, v23, 0
	v_mul_lo_u32 v23, s18, v3
	v_mul_lo_u32 v3, s12, v3
	s_mov_b32 s17, 0xc090cc00
	v_mov_b32_e32 v10, 0xfca7ab0c
	v_add3_u32 v2, v2, v23, v22
	v_lshlrev_b64 v[1:2], 3, v[1:2]
	v_add3_u32 v13, v13, v3, v24
	v_lshlrev_b64 v[12:13], 3, v[12:13]
	v_add_co_u32_e32 v20, vcc, v26, v1
	v_addc_co_u32_e32 v21, vcc, v27, v2, vcc
	v_add_co_u32_e32 v22, vcc, v0, v12
	v_mov_b32_e32 v11, 0x3e928af3
	v_addc_co_u32_e32 v23, vcc, v25, v13, vcc
	s_mov_b64 s[2:3], 0
.LBB9_4:                                ; =>This Loop Header: Depth=1
                                        ;     Child Loop BB9_5 Depth 2
	s_mul_i32 s0, s2, s23
	s_mul_hi_u32 s1, s2, s22
	s_add_i32 s0, s1, s0
	s_mul_i32 s1, s3, s22
	s_add_i32 s1, s0, s1
	s_mul_i32 s0, s2, s22
	s_lshl_b64 s[0:1], s[0:1], 3
	v_mov_b32_e32 v1, s1
	v_add_co_u32_e32 v0, vcc, s0, v16
	s_mul_i32 s0, s2, s29
	s_mul_hi_u32 s1, s2, s28
	s_add_i32 s0, s1, s0
	s_mul_i32 s1, s3, s28
	s_add_i32 s1, s0, s1
	s_mul_i32 s0, s2, s28
	v_addc_co_u32_e32 v1, vcc, v17, v1, vcc
	s_lshl_b64 s[0:1], s[0:1], 3
	v_mov_b32_e32 v3, s1
	v_add_co_u32_e32 v2, vcc, s0, v18
	v_addc_co_u32_e32 v3, vcc, v19, v3, vcc
	global_load_dwordx2 v[12:13], v[0:1], off
	global_load_dwordx2 v[14:15], v[2:3], off
	s_mul_i32 s0, s2, s15
	s_mul_hi_u32 s1, s2, s14
	s_mul_i32 s12, s3, s14
	s_add_i32 s1, s1, s0
	s_mul_i32 s0, s2, s14
	s_add_i32 s1, s1, s12
	s_lshl_b64 s[0:1], s[0:1], 3
	v_mov_b32_e32 v1, s1
	v_add_co_u32_e32 v0, vcc, s0, v20
	v_addc_co_u32_e32 v1, vcc, v21, v1, vcc
	global_load_dwordx2 v[0:1], v[0:1], off
	s_mul_i32 s1, s2, s9
	s_mul_hi_u32 s12, s2, s8
	s_mul_i32 s13, s3, s8
	s_add_i32 s1, s12, s1
	s_mul_i32 s0, s2, s8
	s_add_i32 s1, s1, s13
	s_lshl_b64 s[0:1], s[0:1], 3
	v_mov_b32_e32 v24, 0xfff00000
	v_bfrev_b32_e32 v25, 1
	s_waitcnt vmcnt(1)
	v_add_f64 v[2:3], v[12:13], v[14:15]
	v_add_f64 v[2:3], v[4:5], v[2:3]
	s_waitcnt vmcnt(0)
	v_add_f64 v[0:1], v[2:3], -v[0:1]
	v_mul_f64 v[2:3], v[0:1], s[4:5]
	v_rndne_f64_e32 v[2:3], v[2:3]
	v_fma_f64 v[12:13], v[2:3], s[34:35], v[0:1]
	v_fma_f64 v[12:13], v[2:3], s[48:49], v[12:13]
	v_cvt_i32_f64_e32 v2, v[2:3]
	v_fma_f64 v[14:15], v[12:13], s[50:51], v[10:11]
	v_fma_f64 v[14:15], v[12:13], v[14:15], s[52:53]
	;; [unrolled: 1-line block ×9, first 2 shown]
	v_fma_f64 v[14:15], v[12:13], v[14:15], 1.0
	v_fma_f64 v[12:13], v[12:13], v[14:15], 1.0
	v_ldexp_f64 v[14:15], -v[12:13], v2
	v_mov_b32_e32 v2, s1
	v_add_co_u32_e32 v12, vcc, s0, v22
	v_addc_co_u32_e32 v13, vcc, v23, v2, vcc
	global_load_dwordx2 v[2:3], v[12:13], off
	v_cmp_nlt_f64_e32 vcc, s[36:37], v[0:1]
	v_cmp_ngt_f64_e64 s[0:1], s[16:17], v[0:1]
	v_cndmask_b32_e32 v15, v24, v15, vcc
	s_and_b64 vcc, s[0:1], vcc
	v_cndmask_b32_e64 v1, v25, v15, s[0:1]
	v_cndmask_b32_e32 v0, 0, v14, vcc
	v_mul_f64 v[14:15], v[8:9], v[0:1]
	s_mov_b64 s[0:1], 0
.LBB9_5:                                ;   Parent Loop BB9_4 Depth=1
                                        ; =>  This Inner Loop Header: Depth=2
	s_waitcnt vmcnt(0)
	v_add_f64 v[0:1], v[2:3], v[14:15]
	global_atomic_cmpswap_x2 v[0:1], v[12:13], v[0:3], off glc
	s_waitcnt vmcnt(0)
	v_cmp_eq_u64_e32 vcc, v[0:1], v[2:3]
	v_mov_b32_e32 v3, v1
	s_or_b64 s[0:1], vcc, s[0:1]
	v_mov_b32_e32 v2, v0
	s_andn2_b64 exec, exec, s[0:1]
	s_cbranch_execnz .LBB9_5
; %bb.6:                                ;   in Loop: Header=BB9_4 Depth=1
	s_or_b64 exec, exec, s[0:1]
	s_add_u32 s2, s2, 1
	s_addc_u32 s3, s3, 0
	v_cmp_eq_u64_e32 vcc, s[2:3], v[6:7]
	s_or_b64 s[6:7], vcc, s[6:7]
	s_andn2_b64 exec, exec, s[6:7]
	s_cbranch_execnz .LBB9_4
.LBB9_7:
	s_endpgm
	.section	.rodata,"a",@progbits
	.p2align	6, 0x0
	.amdhsa_kernel _ZN2at6native12_GLOBAL__N_145ctc_loss_backward_collect_nonblank_gpu_kernelIdiEEvPT_PKS3_lS6_S6_S6_PKlPKT0_S8_S6_llllllllllllS8_llb
		.amdhsa_group_segment_fixed_size 0
		.amdhsa_private_segment_fixed_size 0
		.amdhsa_kernarg_size 464
		.amdhsa_user_sgpr_count 6
		.amdhsa_user_sgpr_private_segment_buffer 1
		.amdhsa_user_sgpr_dispatch_ptr 0
		.amdhsa_user_sgpr_queue_ptr 0
		.amdhsa_user_sgpr_kernarg_segment_ptr 1
		.amdhsa_user_sgpr_dispatch_id 0
		.amdhsa_user_sgpr_flat_scratch_init 0
		.amdhsa_user_sgpr_private_segment_size 0
		.amdhsa_uses_dynamic_stack 0
		.amdhsa_system_sgpr_private_segment_wavefront_offset 0
		.amdhsa_system_sgpr_workgroup_id_x 1
		.amdhsa_system_sgpr_workgroup_id_y 1
		.amdhsa_system_sgpr_workgroup_id_z 0
		.amdhsa_system_sgpr_workgroup_info 0
		.amdhsa_system_vgpr_workitem_id 1
		.amdhsa_next_free_vgpr 28
		.amdhsa_next_free_sgpr 64
		.amdhsa_reserve_vcc 1
		.amdhsa_reserve_flat_scratch 0
		.amdhsa_float_round_mode_32 0
		.amdhsa_float_round_mode_16_64 0
		.amdhsa_float_denorm_mode_32 3
		.amdhsa_float_denorm_mode_16_64 3
		.amdhsa_dx10_clamp 1
		.amdhsa_ieee_mode 1
		.amdhsa_fp16_overflow 0
		.amdhsa_exception_fp_ieee_invalid_op 0
		.amdhsa_exception_fp_denorm_src 0
		.amdhsa_exception_fp_ieee_div_zero 0
		.amdhsa_exception_fp_ieee_overflow 0
		.amdhsa_exception_fp_ieee_underflow 0
		.amdhsa_exception_fp_ieee_inexact 0
		.amdhsa_exception_int_div_zero 0
	.end_amdhsa_kernel
	.section	.text._ZN2at6native12_GLOBAL__N_145ctc_loss_backward_collect_nonblank_gpu_kernelIdiEEvPT_PKS3_lS6_S6_S6_PKlPKT0_S8_S6_llllllllllllS8_llb,"axG",@progbits,_ZN2at6native12_GLOBAL__N_145ctc_loss_backward_collect_nonblank_gpu_kernelIdiEEvPT_PKS3_lS6_S6_S6_PKlPKT0_S8_S6_llllllllllllS8_llb,comdat
.Lfunc_end9:
	.size	_ZN2at6native12_GLOBAL__N_145ctc_loss_backward_collect_nonblank_gpu_kernelIdiEEvPT_PKS3_lS6_S6_S6_PKlPKT0_S8_S6_llllllllllllS8_llb, .Lfunc_end9-_ZN2at6native12_GLOBAL__N_145ctc_loss_backward_collect_nonblank_gpu_kernelIdiEEvPT_PKS3_lS6_S6_S6_PKlPKT0_S8_S6_llllllllllllS8_llb
                                        ; -- End function
	.set _ZN2at6native12_GLOBAL__N_145ctc_loss_backward_collect_nonblank_gpu_kernelIdiEEvPT_PKS3_lS6_S6_S6_PKlPKT0_S8_S6_llllllllllllS8_llb.num_vgpr, 28
	.set _ZN2at6native12_GLOBAL__N_145ctc_loss_backward_collect_nonblank_gpu_kernelIdiEEvPT_PKS3_lS6_S6_S6_PKlPKT0_S8_S6_llllllllllllS8_llb.num_agpr, 0
	.set _ZN2at6native12_GLOBAL__N_145ctc_loss_backward_collect_nonblank_gpu_kernelIdiEEvPT_PKS3_lS6_S6_S6_PKlPKT0_S8_S6_llllllllllllS8_llb.numbered_sgpr, 64
	.set _ZN2at6native12_GLOBAL__N_145ctc_loss_backward_collect_nonblank_gpu_kernelIdiEEvPT_PKS3_lS6_S6_S6_PKlPKT0_S8_S6_llllllllllllS8_llb.num_named_barrier, 0
	.set _ZN2at6native12_GLOBAL__N_145ctc_loss_backward_collect_nonblank_gpu_kernelIdiEEvPT_PKS3_lS6_S6_S6_PKlPKT0_S8_S6_llllllllllllS8_llb.private_seg_size, 0
	.set _ZN2at6native12_GLOBAL__N_145ctc_loss_backward_collect_nonblank_gpu_kernelIdiEEvPT_PKS3_lS6_S6_S6_PKlPKT0_S8_S6_llllllllllllS8_llb.uses_vcc, 1
	.set _ZN2at6native12_GLOBAL__N_145ctc_loss_backward_collect_nonblank_gpu_kernelIdiEEvPT_PKS3_lS6_S6_S6_PKlPKT0_S8_S6_llllllllllllS8_llb.uses_flat_scratch, 0
	.set _ZN2at6native12_GLOBAL__N_145ctc_loss_backward_collect_nonblank_gpu_kernelIdiEEvPT_PKS3_lS6_S6_S6_PKlPKT0_S8_S6_llllllllllllS8_llb.has_dyn_sized_stack, 0
	.set _ZN2at6native12_GLOBAL__N_145ctc_loss_backward_collect_nonblank_gpu_kernelIdiEEvPT_PKS3_lS6_S6_S6_PKlPKT0_S8_S6_llllllllllllS8_llb.has_recursion, 0
	.set _ZN2at6native12_GLOBAL__N_145ctc_loss_backward_collect_nonblank_gpu_kernelIdiEEvPT_PKS3_lS6_S6_S6_PKlPKT0_S8_S6_llllllllllllS8_llb.has_indirect_call, 0
	.section	.AMDGPU.csdata,"",@progbits
; Kernel info:
; codeLenInByte = 1592
; TotalNumSgprs: 68
; NumVgprs: 28
; ScratchSize: 0
; MemoryBound: 0
; FloatMode: 240
; IeeeMode: 1
; LDSByteSize: 0 bytes/workgroup (compile time only)
; SGPRBlocks: 8
; VGPRBlocks: 6
; NumSGPRsForWavesPerEU: 68
; NumVGPRsForWavesPerEU: 28
; Occupancy: 9
; WaveLimiterHint : 1
; COMPUTE_PGM_RSRC2:SCRATCH_EN: 0
; COMPUTE_PGM_RSRC2:USER_SGPR: 6
; COMPUTE_PGM_RSRC2:TRAP_HANDLER: 0
; COMPUTE_PGM_RSRC2:TGID_X_EN: 1
; COMPUTE_PGM_RSRC2:TGID_Y_EN: 1
; COMPUTE_PGM_RSRC2:TGID_Z_EN: 0
; COMPUTE_PGM_RSRC2:TIDIG_COMP_CNT: 1
	.section	.text._ZN2at6native12_GLOBAL__N_136ctc_loss_backward_collect_gpu_kernelIdiEEvPT_PKS3_lS6_S6_S6_PKllPKT0_S8_lS6_llllllllllllS8_llllb,"axG",@progbits,_ZN2at6native12_GLOBAL__N_136ctc_loss_backward_collect_gpu_kernelIdiEEvPT_PKS3_lS6_S6_S6_PKllPKT0_S8_lS6_llllllllllllS8_llllb,comdat
	.globl	_ZN2at6native12_GLOBAL__N_136ctc_loss_backward_collect_gpu_kernelIdiEEvPT_PKS3_lS6_S6_S6_PKllPKT0_S8_lS6_llllllllllllS8_llllb ; -- Begin function _ZN2at6native12_GLOBAL__N_136ctc_loss_backward_collect_gpu_kernelIdiEEvPT_PKS3_lS6_S6_S6_PKllPKT0_S8_lS6_llllllllllllS8_llllb
	.p2align	8
	.type	_ZN2at6native12_GLOBAL__N_136ctc_loss_backward_collect_gpu_kernelIdiEEvPT_PKS3_lS6_S6_S6_PKllPKT0_S8_lS6_llllllllllllS8_llllb,@function
_ZN2at6native12_GLOBAL__N_136ctc_loss_backward_collect_gpu_kernelIdiEEvPT_PKS3_lS6_S6_S6_PKllPKT0_S8_lS6_llllllllllllS8_llllb: ; @_ZN2at6native12_GLOBAL__N_136ctc_loss_backward_collect_gpu_kernelIdiEEvPT_PKS3_lS6_S6_S6_PKllPKT0_S8_lS6_llllllllllllS8_llllb
; %bb.0:
	s_load_dword s8, s[4:5], 0xfc
	s_load_dwordx2 s[0:1], s[4:5], 0x38
	s_load_dwordx8 s[36:43], s[4:5], 0xc8
	v_mov_b32_e32 v3, 0
	v_mov_b32_e32 v2, v1
	;; [unrolled: 1-line block ×3, first 2 shown]
	s_waitcnt lgkmcnt(0)
	s_and_b32 s2, s8, 0xffff
	v_mov_b32_e32 v4, s6
	v_mad_u64_u32 v[4:5], s[2:3], s2, v4, v[0:1]
	s_lshr_b32 s2, s8, 16
	s_mul_i32 s7, s7, s2
	v_add_u32_e32 v2, s7, v2
	v_cmp_gt_i64_e32 vcc, s[0:1], v[4:5]
	v_cmp_gt_i64_e64 s[0:1], s[38:39], v[2:3]
	s_and_b64 s[0:1], vcc, s[0:1]
	s_and_saveexec_b64 s[2:3], s[0:1]
	s_cbranch_execz .LBB10_15
; %bb.1:
	s_load_dwordx2 s[0:1], s[4:5], 0x30
	s_load_dwordx2 s[6:7], s[4:5], 0x50
	v_lshlrev_b64 v[8:9], 3, v[2:3]
	s_load_dwordx16 s[12:27], s[4:5], 0x60
	s_mov_b64 s[28:29], 0
	s_waitcnt lgkmcnt(0)
	v_mov_b32_e32 v1, s1
	v_add_co_u32_e32 v0, vcc, s0, v8
	v_addc_co_u32_e32 v1, vcc, v1, v9, vcc
	global_load_dwordx2 v[6:7], v[0:1], off
	v_mad_u64_u32 v[0:1], s[0:1], s14, v2, 0
	v_mul_lo_u32 v3, v5, s12
	v_mul_lo_u32 v26, v4, s13
	v_mad_u64_u32 v[10:11], s[0:1], s15, v2, v[1:2]
	s_load_dwordx2 s[14:15], s[4:5], 0x0
	v_cmp_lt_i64_e64 s[0:1], s[6:7], 0
	v_mov_b32_e32 v1, v10
	v_lshlrev_b64 v[0:1], 3, v[0:1]
	s_and_b64 vcc, exec, s[0:1]
	s_cbranch_vccnz .LBB10_10
; %bb.2:
	s_load_dwordx2 s[8:9], s[4:5], 0xc0
	s_load_dwordx4 s[0:3], s[4:5], 0x40
	s_load_dwordx8 s[48:55], s[4:5], 0xa0
	v_mul_lo_u32 v20, v5, s26
	v_mul_lo_u32 v21, v4, s27
	s_waitcnt lgkmcnt(0)
	v_mov_b32_e32 v11, s9
	v_add_co_u32_e32 v10, vcc, s8, v8
	v_addc_co_u32_e32 v11, vcc, v11, v9, vcc
	global_load_dwordx2 v[14:15], v[10:11], off
	v_mov_b32_e32 v11, s3
	v_add_co_u32_e32 v10, vcc, s2, v8
	v_addc_co_u32_e32 v11, vcc, v11, v9, vcc
	global_load_dwordx2 v[16:17], v[10:11], off
	v_mad_u64_u32 v[10:11], s[2:3], s24, v2, 0
	v_mad_u64_u32 v[12:13], s[2:3], v4, s26, 0
	v_mad_u64_u32 v[18:19], s[2:3], v4, s12, 0
	v_add3_u32 v13, v13, v21, v20
	v_mad_u64_u32 v[20:21], s[2:3], s25, v2, v[11:12]
	v_mad_u64_u32 v[23:24], s[2:3], s50, v2, 0
	v_add3_u32 v19, v19, v26, v3
	s_load_dwordx4 s[8:11], s[4:5], 0x18
	v_mov_b32_e32 v22, s15
	v_add_co_u32_e32 v25, vcc, s14, v0
	v_lshlrev_b64 v[18:19], 3, v[18:19]
	v_addc_co_u32_e32 v28, vcc, v22, v1, vcc
	v_add_co_u32_e32 v27, vcc, v25, v18
	v_mov_b32_e32 v11, v20
	v_mov_b32_e32 v18, v24
	v_addc_co_u32_e32 v28, vcc, v28, v19, vcc
	v_lshlrev_b64 v[10:11], 3, v[10:11]
	v_mad_u64_u32 v[18:19], s[2:3], s51, v2, v[18:19]
	s_waitcnt lgkmcnt(0)
	v_mov_b32_e32 v29, s9
	v_lshlrev_b64 v[12:13], 3, v[12:13]
	v_mul_lo_u32 v30, v5, s52
	v_mul_lo_u32 v31, v4, s53
	v_mad_u64_u32 v[21:22], s[2:3], v4, s52, 0
	v_add_co_u32_e32 v10, vcc, s8, v10
	v_addc_co_u32_e32 v11, vcc, v29, v11, vcc
	v_add_co_u32_e32 v10, vcc, v10, v12
	v_mov_b32_e32 v24, v18
	v_addc_co_u32_e32 v11, vcc, v11, v13, vcc
	v_lshlrev_b64 v[12:13], 3, v[23:24]
	v_add3_u32 v22, v22, v31, v30
	v_mov_b32_e32 v32, s11
	v_lshlrev_b64 v[19:20], 3, v[21:22]
	v_add_co_u32_e32 v12, vcc, s10, v12
	v_addc_co_u32_e32 v13, vcc, v32, v13, vcc
	v_add_co_u32_e32 v12, vcc, v12, v19
	v_addc_co_u32_e32 v13, vcc, v13, v20, vcc
	s_mov_b32 s30, 0x652b82fe
	s_mov_b32 s34, 0xfefa39ef
	;; [unrolled: 1-line block ×4, first 2 shown]
	v_mov_b32_e32 v33, s1
	s_lshl_b64 s[24:25], s[48:49], 3
	s_lshl_b64 s[46:47], s[54:55], 3
	s_mov_b32 s48, 0x6a5dcb37
	s_mov_b32 s50, 0x623fde64
	;; [unrolled: 1-line block ×11, first 2 shown]
	s_waitcnt vmcnt(1)
	v_lshlrev_b64 v[18:19], 2, v[14:15]
	s_mov_b32 s70, 0xd7f4df2e
	v_add_co_u32_e32 v29, vcc, s0, v18
	s_mov_b32 s72, 0x16291751
	s_mov_b32 s74, 0x9b27acf1
	s_waitcnt vmcnt(0)
	v_lshlrev_b64 v[14:15], 1, v[16:17]
	s_mov_b32 s76, 0x998ef7b6
	s_mov_b32 s80, 0
	;; [unrolled: 1-line block ×4, first 2 shown]
	s_lshl_b64 s[26:27], s[6:7], 1
	s_mov_b32 s31, 0x3ff71547
	s_mov_b32 s35, 0xbfe62e42
	;; [unrolled: 1-line block ×4, first 2 shown]
	v_addc_co_u32_e32 v30, vcc, v33, v19, vcc
	s_mov_b32 s49, 0x3e5ade15
	s_mov_b32 s51, 0x3ec71dee
	;; [unrolled: 1-line block ×13, first 2 shown]
	v_mov_b32_e32 v31, 0x7ff00000
	v_mov_b32_e32 v32, 0x7ff80000
	s_mov_b32 s75, 0x3fd24924
	v_mov_b32_e32 v16, 0x6b47b09a
	s_mov_b32 s77, 0x3fd99999
	v_mov_b32_e32 v33, 0xfff00000
	s_movk_i32 s13, 0x204
	v_mov_b32_e32 v17, 0x3fc38538
	s_mov_b32 s79, 0
	s_mov_b32 s81, 0xfff00000
	;; [unrolled: 1-line block ×7, first 2 shown]
	s_branch .LBB10_5
.LBB10_3:                               ;   in Loop: Header=BB10_5 Depth=1
	s_or_b64 exec, exec, s[94:95]
	global_store_dwordx2 v[18:19], v[22:23], off
.LBB10_4:                               ;   in Loop: Header=BB10_5 Depth=1
	s_or_b64 exec, exec, s[92:93]
	s_add_u32 s28, s28, 1
	v_mov_b32_e32 v18, s25
	v_add_co_u32_e32 v10, vcc, s24, v10
	s_addc_u32 s29, s29, 0
	v_addc_co_u32_e32 v11, vcc, v11, v18, vcc
	v_mov_b32_e32 v18, s28
	v_mov_b32_e32 v19, s29
	v_cmp_lt_i64_e32 vcc, s[26:27], v[18:19]
	v_mov_b32_e32 v20, s47
	v_add_co_u32_e64 v12, s[0:1], s46, v12
	v_addc_co_u32_e64 v13, s[0:1], v13, v20, s[0:1]
	s_cbranch_vccnz .LBB10_10
.LBB10_5:                               ; =>This Inner Loop Header: Depth=1
	v_cmp_le_i64_e32 vcc, s[28:29], v[14:15]
	s_and_saveexec_b64 s[92:93], vcc
	s_cbranch_execz .LBB10_4
; %bb.6:                                ;   in Loop: Header=BB10_5 Depth=1
	s_and_b32 s78, s28, 1
	v_mov_b32_e32 v18, s42
	s_cmp_eq_u64 s[78:79], 0
	v_mov_b32_e32 v19, s43
	s_cbranch_scc1 .LBB10_8
; %bb.7:                                ;   in Loop: Header=BB10_5 Depth=1
	s_lshr_b64 s[0:1], s[28:29], 1
	s_lshr_b32 s1, s29, 1
	s_mul_i32 s1, s36, s1
	s_mul_hi_u32 s2, s36, s0
	s_add_i32 s1, s2, s1
	s_mul_i32 s2, s37, s0
	s_add_i32 s1, s1, s2
	s_mul_i32 s0, s36, s0
	s_lshl_b64 s[0:1], s[0:1], 2
	v_mov_b32_e32 v19, s1
	v_add_co_u32_e32 v18, vcc, s0, v29
	v_addc_co_u32_e32 v19, vcc, v30, v19, vcc
	global_load_dword v18, v[18:19], off
	s_waitcnt vmcnt(0)
	v_ashrrev_i32_e32 v19, 31, v18
.LBB10_8:                               ;   in Loop: Header=BB10_5 Depth=1
	v_mul_lo_u32 v24, v19, s16
	v_mul_lo_u32 v25, v18, s17
	v_mad_u64_u32 v[18:19], s[0:1], v18, s16, 0
	global_load_dwordx2 v[20:21], v[10:11], off
	global_load_dwordx2 v[22:23], v[12:13], off
	v_add3_u32 v19, v19, v25, v24
	v_lshlrev_b64 v[18:19], 3, v[18:19]
	v_add_co_u32_e32 v18, vcc, v27, v18
	v_addc_co_u32_e32 v19, vcc, v28, v19, vcc
	global_load_dwordx2 v[24:25], v[18:19], off
	s_waitcnt vmcnt(1)
	v_add_f64 v[22:23], v[20:21], v[22:23]
	s_waitcnt vmcnt(0)
	v_cmp_neq_f64_e32 vcc, s[80:81], v[24:25]
	s_and_saveexec_b64 s[94:95], vcc
	s_cbranch_execz .LBB10_3
; %bb.9:                                ;   in Loop: Header=BB10_5 Depth=1
	v_cmp_gt_f64_e32 vcc, v[24:25], v[22:23]
	v_mov_b32_e32 v42, s44
	v_mov_b32_e32 v43, s45
	s_mov_b32 s87, s67
	s_mov_b32 s88, s34
	s_mov_b32 s90, s38
	v_cndmask_b32_e32 v21, v23, v25, vcc
	v_cndmask_b32_e32 v20, v22, v24, vcc
	v_add_f64 v[24:25], v[24:25], -v[20:21]
	v_add_f64 v[22:23], v[22:23], -v[20:21]
	v_mul_f64 v[34:35], v[24:25], s[30:31]
	v_mul_f64 v[36:37], v[22:23], s[30:31]
	v_cmp_nlt_f64_e32 vcc, s[82:83], v[24:25]
	v_cmp_ngt_f64_e64 s[0:1], s[84:85], v[24:25]
	v_cmp_nlt_f64_e64 s[2:3], s[82:83], v[22:23]
	v_cmp_ngt_f64_e64 s[6:7], s[84:85], v[22:23]
	v_rndne_f64_e32 v[34:35], v[34:35]
	v_rndne_f64_e32 v[36:37], v[36:37]
	s_and_b64 s[8:9], s[0:1], vcc
	s_and_b64 s[10:11], s[6:7], s[2:3]
	v_fma_f64 v[38:39], v[34:35], s[34:35], v[24:25]
	v_fma_f64 v[40:41], v[36:37], s[34:35], v[22:23]
	v_cvt_i32_f64_e32 v24, v[34:35]
	v_cvt_i32_f64_e32 v25, v[36:37]
	v_fma_f64 v[38:39], v[34:35], s[38:39], v[38:39]
	v_fma_f64 v[40:41], v[36:37], s[38:39], v[40:41]
	;; [unrolled: 1-line block ×20, first 2 shown]
	v_fma_f64 v[44:45], v[38:39], v[44:45], 1.0
	v_fma_f64 v[42:43], v[40:41], v[42:43], 1.0
	;; [unrolled: 1-line block ×4, first 2 shown]
	v_ldexp_f64 v[22:23], v[38:39], v24
	v_ldexp_f64 v[24:25], v[40:41], v25
	v_cndmask_b32_e32 v23, v31, v23, vcc
	v_cndmask_b32_e64 v25, v31, v25, s[2:3]
	v_cndmask_b32_e64 v22, 0, v22, s[8:9]
	;; [unrolled: 1-line block ×5, first 2 shown]
	v_add_f64 v[22:23], v[22:23], v[24:25]
	v_frexp_mant_f64_e32 v[24:25], v[22:23]
	v_cmp_ngt_f64_e64 s[0:1], 0, v[22:23]
	v_cmp_nge_f64_e64 s[2:3], 0, v[22:23]
	v_cmp_neq_f64_e64 s[6:7], 0, v[22:23]
	v_cmp_gt_f64_e32 vcc, s[66:67], v[24:25]
	v_cndmask_b32_e64 v34, 0, 1, vcc
	v_ldexp_f64 v[24:25], v[24:25], v34
	v_add_f64 v[34:35], v[24:25], 1.0
	v_add_f64 v[40:41], v[24:25], -1.0
	v_rcp_f64_e32 v[36:37], v[34:35]
	v_add_f64 v[42:43], v[34:35], -1.0
	v_add_f64 v[24:25], v[24:25], -v[42:43]
	v_fma_f64 v[38:39], -v[34:35], v[36:37], 1.0
	v_fma_f64 v[36:37], v[38:39], v[36:37], v[36:37]
	v_fma_f64 v[38:39], -v[34:35], v[36:37], 1.0
	v_fma_f64 v[36:37], v[38:39], v[36:37], v[36:37]
	v_mul_f64 v[38:39], v[40:41], v[36:37]
	v_mul_f64 v[44:45], v[34:35], v[38:39]
	v_fma_f64 v[34:35], v[38:39], v[34:35], -v[44:45]
	v_fma_f64 v[24:25], v[38:39], v[24:25], v[34:35]
	v_add_f64 v[34:35], v[44:45], v[24:25]
	v_add_f64 v[42:43], v[40:41], -v[34:35]
	v_add_f64 v[44:45], v[34:35], -v[44:45]
	;; [unrolled: 1-line block ×5, first 2 shown]
	v_add_f64 v[24:25], v[24:25], v[34:35]
	v_add_f64 v[24:25], v[42:43], v[24:25]
	v_mul_f64 v[24:25], v[36:37], v[24:25]
	v_add_f64 v[34:35], v[38:39], v[24:25]
	v_mul_f64 v[36:37], v[34:35], v[34:35]
	v_fma_f64 v[40:41], v[36:37], s[68:69], v[16:17]
	v_mul_f64 v[42:43], v[34:35], v[36:37]
	v_fma_f64 v[40:41], v[36:37], v[40:41], s[70:71]
	v_fma_f64 v[40:41], v[36:37], v[40:41], s[72:73]
	;; [unrolled: 1-line block ×5, first 2 shown]
	v_ldexp_f64 v[40:41], v[34:35], 1
	v_add_f64 v[34:35], v[34:35], -v[38:39]
	v_mul_f64 v[36:37], v[42:43], v[36:37]
	v_frexp_exp_i32_f64_e32 v42, v[22:23]
	v_add_f64 v[24:25], v[24:25], -v[34:35]
	v_add_f64 v[38:39], v[40:41], v[36:37]
	v_subbrev_co_u32_e32 v42, vcc, 0, v42, vcc
	v_cvt_f64_i32_e32 v[42:43], v42
	v_ldexp_f64 v[24:25], v[24:25], 1
	v_cmp_class_f64_e64 vcc, v[22:23], s13
	v_mul_f64 v[44:45], v[42:43], s[88:89]
	v_add_f64 v[34:35], v[38:39], -v[40:41]
	v_fma_f64 v[40:41], v[42:43], s[88:89], -v[44:45]
	v_add_f64 v[34:35], v[36:37], -v[34:35]
	v_fma_f64 v[36:37], v[42:43], s[90:91], v[40:41]
	v_add_f64 v[24:25], v[24:25], v[34:35]
	v_add_f64 v[34:35], v[44:45], v[36:37]
	v_add_f64 v[40:41], v[38:39], v[24:25]
	v_add_f64 v[44:45], v[34:35], -v[44:45]
	v_add_f64 v[42:43], v[34:35], v[40:41]
	v_add_f64 v[38:39], v[40:41], -v[38:39]
	v_add_f64 v[36:37], v[36:37], -v[44:45]
	;; [unrolled: 1-line block ×6, first 2 shown]
	v_add_f64 v[40:41], v[36:37], v[24:25]
	v_add_f64 v[34:35], v[34:35], -v[48:49]
	v_add_f64 v[34:35], v[38:39], v[34:35]
	v_add_f64 v[38:39], v[40:41], -v[36:37]
	;; [unrolled: 2-line block ×3, first 2 shown]
	v_add_f64 v[24:25], v[24:25], -v[38:39]
	v_add_f64 v[44:45], v[42:43], v[34:35]
	v_add_f64 v[36:37], v[36:37], -v[40:41]
	v_add_f64 v[38:39], v[44:45], -v[42:43]
	v_add_f64 v[24:25], v[24:25], v[36:37]
	v_add_f64 v[34:35], v[34:35], -v[38:39]
	v_add_f64 v[24:25], v[24:25], v[34:35]
	v_add_f64 v[24:25], v[44:45], v[24:25]
	v_cndmask_b32_e32 v23, v25, v23, vcc
	v_cndmask_b32_e32 v22, v24, v22, vcc
	v_cndmask_b32_e64 v23, v32, v23, s[0:1]
	v_cndmask_b32_e64 v22, 0, v22, s[2:3]
	;; [unrolled: 1-line block ×3, first 2 shown]
	v_add_f64 v[22:23], v[20:21], v[22:23]
	s_branch .LBB10_3
.LBB10_10:
	v_cmp_lt_i64_e64 s[0:1], s[40:41], 1
	s_and_b64 vcc, exec, s[0:1]
	s_cbranch_vccnz .LBB10_15
; %bb.11:
	s_load_dwordx2 s[0:1], s[4:5], 0x58
	s_load_dwordx4 s[8:11], s[4:5], 0x8
	s_load_dwordx2 s[2:3], s[4:5], 0x28
	s_load_dword s33, s[4:5], 0xe8
	s_waitcnt lgkmcnt(0)
	v_mov_b32_e32 v16, s15
	v_mov_b32_e32 v12, s1
	v_mad_u64_u32 v[10:11], s[4:5], s10, v2, 0
	v_add_co_u32_e32 v8, vcc, s0, v8
	v_addc_co_u32_e32 v9, vcc, v12, v9, vcc
	global_load_dwordx2 v[8:9], v[8:9], off
	v_mad_u64_u32 v[11:12], s[0:1], s11, v2, v[11:12]
	v_mov_b32_e32 v12, s9
	v_mad_u64_u32 v[14:15], s[0:1], v4, s12, 0
	v_lshlrev_b64 v[10:11], 3, v[10:11]
	s_bitcmp1_b32 s33, 0
	v_add_co_u32_e32 v10, vcc, s8, v10
	v_addc_co_u32_e32 v11, vcc, v12, v11, vcc
	global_load_dwordx2 v[10:11], v[10:11], off
	v_mad_u64_u32 v[12:13], s[0:1], s20, v2, 0
	s_waitcnt vmcnt(2)
	v_cmp_lt_i64_e32 vcc, v[4:5], v[6:7]
	v_mul_lo_u32 v6, v5, s18
	v_mul_lo_u32 v7, v4, s19
	v_mad_u64_u32 v[4:5], s[0:1], v4, s18, 0
	v_add_co_u32_e64 v17, s[0:1], s14, v0
	v_mov_b32_e32 v0, v13
	v_add3_u32 v15, v15, v26, v3
	v_addc_co_u32_e64 v16, s[0:1], v16, v1, s[0:1]
	v_mad_u64_u32 v[2:3], s[0:1], s21, v2, v[0:1]
	v_lshlrev_b64 v[0:1], 3, v[14:15]
	s_cselect_b64 s[0:1], -1, 0
	s_mov_b32 s4, 0
	s_xor_b64 s[20:21], s[0:1], -1
	v_add_co_u32_e64 v0, s[0:1], v17, v0
	s_mov_b32 s5, 0x7ff00000
	v_addc_co_u32_e64 v1, s[0:1], v16, v1, s[0:1]
	v_add3_u32 v5, v5, v7, v6
	v_mov_b32_e32 v13, v2
	v_lshlrev_b64 v[3:4], 3, v[4:5]
	v_lshlrev_b64 v[5:6], 3, v[12:13]
	v_mov_b32_e32 v7, s3
	v_add_co_u32_e64 v2, s[2:3], s2, v5
	v_addc_co_u32_e64 v5, s[2:3], v7, v6, s[2:3]
	s_mov_b32 s6, 0x652b82fe
	s_mov_b32 s8, 0xfefa39ef
	;; [unrolled: 1-line block ×14, first 2 shown]
	s_lshl_b64 s[14:15], s[22:23], 3
	v_add_co_u32_e64 v2, s[2:3], v2, v3
	s_mov_b32 s22, 0
	s_mov_b32 s7, 0x3ff71547
	;; [unrolled: 1-line block ×15, first 2 shown]
	s_lshl_b64 s[16:17], s[16:17], 3
	v_addc_co_u32_e64 v3, s[2:3], v5, v4, s[2:3]
	s_waitcnt vmcnt(1)
	v_cmp_neq_f64_e64 s[0:1], s[4:5], v[8:9]
	s_mov_b32 s23, 0xc090cc00
	v_mov_b32_e32 v6, 0x7ff00000
	s_or_b64 s[0:1], s[20:21], s[0:1]
	s_and_b64 s[20:21], vcc, s[0:1]
	s_branch .LBB10_13
.LBB10_12:                              ;   in Loop: Header=BB10_13 Depth=1
	s_or_b64 exec, exec, s[46:47]
	global_store_dwordx2 v[0:1], v[4:5], off
	v_mov_b32_e32 v4, s15
	v_add_co_u32_e32 v2, vcc, s14, v2
	s_add_u32 s40, s40, -1
	v_addc_co_u32_e32 v3, vcc, v3, v4, vcc
	s_addc_u32 s41, s41, -1
	v_mov_b32_e32 v4, s17
	v_add_co_u32_e32 v0, vcc, s16, v0
	s_cmp_lg_u64 s[40:41], 0
	v_addc_co_u32_e32 v1, vcc, v1, v4, vcc
	s_cbranch_scc0 .LBB10_15
.LBB10_13:                              ; =>This Inner Loop Header: Depth=1
	v_mov_b32_e32 v4, 0
	v_mov_b32_e32 v5, 0
	s_and_saveexec_b64 s[46:47], s[20:21]
	s_cbranch_execz .LBB10_12
; %bb.14:                               ;   in Loop: Header=BB10_13 Depth=1
	global_load_dwordx2 v[4:5], v[0:1], off
	global_load_dwordx2 v[12:13], v[2:3], off
	v_mov_b32_e32 v23, s13
	v_mov_b32_e32 v22, s12
	s_waitcnt vmcnt(1)
	v_add_f64 v[4:5], v[8:9], v[4:5]
	s_waitcnt vmcnt(0)
	v_mul_f64 v[14:15], v[12:13], s[6:7]
	v_cmp_nlt_f64_e32 vcc, s[44:45], v[12:13]
	v_cmp_ngt_f64_e64 s[0:1], s[22:23], v[12:13]
	v_add_f64 v[4:5], v[4:5], -v[12:13]
	v_rndne_f64_e32 v[14:15], v[14:15]
	v_mul_f64 v[16:17], v[4:5], s[6:7]
	v_fma_f64 v[18:19], v[14:15], s[8:9], v[12:13]
	v_cvt_i32_f64_e32 v7, v[14:15]
	v_cmp_nlt_f64_e64 s[2:3], s[44:45], v[4:5]
	v_cmp_ngt_f64_e64 s[4:5], s[22:23], v[4:5]
	v_rndne_f64_e32 v[16:17], v[16:17]
	v_fma_f64 v[18:19], v[14:15], s[10:11], v[18:19]
	v_fma_f64 v[20:21], v[16:17], s[8:9], v[4:5]
	;; [unrolled: 1-line block ×5, first 2 shown]
	v_cvt_i32_f64_e32 v16, v[16:17]
	v_fma_f64 v[22:23], v[20:21], s[18:19], v[22:23]
	v_fma_f64 v[24:25], v[18:19], v[24:25], s[26:27]
	;; [unrolled: 1-line block ×15, first 2 shown]
	v_fma_f64 v[24:25], v[18:19], v[24:25], 1.0
	v_fma_f64 v[22:23], v[20:21], v[22:23], s[42:43]
	v_fma_f64 v[18:19], v[18:19], v[24:25], 1.0
	v_fma_f64 v[22:23], v[20:21], v[22:23], 1.0
	v_ldexp_f64 v[14:15], v[18:19], v7
	v_fma_f64 v[20:21], v[20:21], v[22:23], 1.0
	v_cndmask_b32_e32 v7, v6, v15, vcc
	s_and_b64 vcc, s[0:1], vcc
	v_cndmask_b32_e32 v4, 0, v14, vcc
	s_and_b64 vcc, s[4:5], s[2:3]
	v_cndmask_b32_e64 v5, 0, v7, s[0:1]
	v_ldexp_f64 v[16:17], v[20:21], v16
	v_cndmask_b32_e64 v12, v6, v17, s[2:3]
	v_cndmask_b32_e64 v13, 0, v12, s[4:5]
	v_cndmask_b32_e32 v12, 0, v16, vcc
	v_add_f64 v[4:5], v[4:5], -v[12:13]
	v_mul_f64 v[4:5], v[10:11], v[4:5]
	s_branch .LBB10_12
.LBB10_15:
	s_endpgm
	.section	.rodata,"a",@progbits
	.p2align	6, 0x0
	.amdhsa_kernel _ZN2at6native12_GLOBAL__N_136ctc_loss_backward_collect_gpu_kernelIdiEEvPT_PKS3_lS6_S6_S6_PKllPKT0_S8_lS6_llllllllllllS8_llllb
		.amdhsa_group_segment_fixed_size 0
		.amdhsa_private_segment_fixed_size 0
		.amdhsa_kernarg_size 496
		.amdhsa_user_sgpr_count 6
		.amdhsa_user_sgpr_private_segment_buffer 1
		.amdhsa_user_sgpr_dispatch_ptr 0
		.amdhsa_user_sgpr_queue_ptr 0
		.amdhsa_user_sgpr_kernarg_segment_ptr 1
		.amdhsa_user_sgpr_dispatch_id 0
		.amdhsa_user_sgpr_flat_scratch_init 0
		.amdhsa_user_sgpr_private_segment_size 0
		.amdhsa_uses_dynamic_stack 0
		.amdhsa_system_sgpr_private_segment_wavefront_offset 0
		.amdhsa_system_sgpr_workgroup_id_x 1
		.amdhsa_system_sgpr_workgroup_id_y 1
		.amdhsa_system_sgpr_workgroup_id_z 0
		.amdhsa_system_sgpr_workgroup_info 0
		.amdhsa_system_vgpr_workitem_id 1
		.amdhsa_next_free_vgpr 50
		.amdhsa_next_free_sgpr 96
		.amdhsa_reserve_vcc 1
		.amdhsa_reserve_flat_scratch 0
		.amdhsa_float_round_mode_32 0
		.amdhsa_float_round_mode_16_64 0
		.amdhsa_float_denorm_mode_32 3
		.amdhsa_float_denorm_mode_16_64 3
		.amdhsa_dx10_clamp 1
		.amdhsa_ieee_mode 1
		.amdhsa_fp16_overflow 0
		.amdhsa_exception_fp_ieee_invalid_op 0
		.amdhsa_exception_fp_denorm_src 0
		.amdhsa_exception_fp_ieee_div_zero 0
		.amdhsa_exception_fp_ieee_overflow 0
		.amdhsa_exception_fp_ieee_underflow 0
		.amdhsa_exception_fp_ieee_inexact 0
		.amdhsa_exception_int_div_zero 0
	.end_amdhsa_kernel
	.section	.text._ZN2at6native12_GLOBAL__N_136ctc_loss_backward_collect_gpu_kernelIdiEEvPT_PKS3_lS6_S6_S6_PKllPKT0_S8_lS6_llllllllllllS8_llllb,"axG",@progbits,_ZN2at6native12_GLOBAL__N_136ctc_loss_backward_collect_gpu_kernelIdiEEvPT_PKS3_lS6_S6_S6_PKllPKT0_S8_lS6_llllllllllllS8_llllb,comdat
.Lfunc_end10:
	.size	_ZN2at6native12_GLOBAL__N_136ctc_loss_backward_collect_gpu_kernelIdiEEvPT_PKS3_lS6_S6_S6_PKllPKT0_S8_lS6_llllllllllllS8_llllb, .Lfunc_end10-_ZN2at6native12_GLOBAL__N_136ctc_loss_backward_collect_gpu_kernelIdiEEvPT_PKS3_lS6_S6_S6_PKllPKT0_S8_lS6_llllllllllllS8_llllb
                                        ; -- End function
	.set _ZN2at6native12_GLOBAL__N_136ctc_loss_backward_collect_gpu_kernelIdiEEvPT_PKS3_lS6_S6_S6_PKllPKT0_S8_lS6_llllllllllllS8_llllb.num_vgpr, 50
	.set _ZN2at6native12_GLOBAL__N_136ctc_loss_backward_collect_gpu_kernelIdiEEvPT_PKS3_lS6_S6_S6_PKllPKT0_S8_lS6_llllllllllllS8_llllb.num_agpr, 0
	.set _ZN2at6native12_GLOBAL__N_136ctc_loss_backward_collect_gpu_kernelIdiEEvPT_PKS3_lS6_S6_S6_PKllPKT0_S8_lS6_llllllllllllS8_llllb.numbered_sgpr, 96
	.set _ZN2at6native12_GLOBAL__N_136ctc_loss_backward_collect_gpu_kernelIdiEEvPT_PKS3_lS6_S6_S6_PKllPKT0_S8_lS6_llllllllllllS8_llllb.num_named_barrier, 0
	.set _ZN2at6native12_GLOBAL__N_136ctc_loss_backward_collect_gpu_kernelIdiEEvPT_PKS3_lS6_S6_S6_PKllPKT0_S8_lS6_llllllllllllS8_llllb.private_seg_size, 0
	.set _ZN2at6native12_GLOBAL__N_136ctc_loss_backward_collect_gpu_kernelIdiEEvPT_PKS3_lS6_S6_S6_PKllPKT0_S8_lS6_llllllllllllS8_llllb.uses_vcc, 1
	.set _ZN2at6native12_GLOBAL__N_136ctc_loss_backward_collect_gpu_kernelIdiEEvPT_PKS3_lS6_S6_S6_PKllPKT0_S8_lS6_llllllllllllS8_llllb.uses_flat_scratch, 0
	.set _ZN2at6native12_GLOBAL__N_136ctc_loss_backward_collect_gpu_kernelIdiEEvPT_PKS3_lS6_S6_S6_PKllPKT0_S8_lS6_llllllllllllS8_llllb.has_dyn_sized_stack, 0
	.set _ZN2at6native12_GLOBAL__N_136ctc_loss_backward_collect_gpu_kernelIdiEEvPT_PKS3_lS6_S6_S6_PKllPKT0_S8_lS6_llllllllllllS8_llllb.has_recursion, 0
	.set _ZN2at6native12_GLOBAL__N_136ctc_loss_backward_collect_gpu_kernelIdiEEvPT_PKS3_lS6_S6_S6_PKllPKT0_S8_lS6_llllllllllllS8_llllb.has_indirect_call, 0
	.section	.AMDGPU.csdata,"",@progbits
; Kernel info:
; codeLenInByte = 3344
; TotalNumSgprs: 100
; NumVgprs: 50
; ScratchSize: 0
; MemoryBound: 0
; FloatMode: 240
; IeeeMode: 1
; LDSByteSize: 0 bytes/workgroup (compile time only)
; SGPRBlocks: 12
; VGPRBlocks: 12
; NumSGPRsForWavesPerEU: 100
; NumVGPRsForWavesPerEU: 50
; Occupancy: 4
; WaveLimiterHint : 1
; COMPUTE_PGM_RSRC2:SCRATCH_EN: 0
; COMPUTE_PGM_RSRC2:USER_SGPR: 6
; COMPUTE_PGM_RSRC2:TRAP_HANDLER: 0
; COMPUTE_PGM_RSRC2:TGID_X_EN: 1
; COMPUTE_PGM_RSRC2:TGID_Y_EN: 1
; COMPUTE_PGM_RSRC2:TGID_Z_EN: 0
; COMPUTE_PGM_RSRC2:TIDIG_COMP_CNT: 1
	.section	.text._ZN2at6native12_GLOBAL__N_137ctc_loss_backward_log_beta_gpu_kernelIflEEvPT_PKS3_PKllPKT0_S8_lllllllS8_lll,"axG",@progbits,_ZN2at6native12_GLOBAL__N_137ctc_loss_backward_log_beta_gpu_kernelIflEEvPT_PKS3_PKllPKT0_S8_lllllllS8_lll,comdat
	.globl	_ZN2at6native12_GLOBAL__N_137ctc_loss_backward_log_beta_gpu_kernelIflEEvPT_PKS3_PKllPKT0_S8_lllllllS8_lll ; -- Begin function _ZN2at6native12_GLOBAL__N_137ctc_loss_backward_log_beta_gpu_kernelIflEEvPT_PKS3_PKllPKT0_S8_lllllllS8_lll
	.p2align	8
	.type	_ZN2at6native12_GLOBAL__N_137ctc_loss_backward_log_beta_gpu_kernelIflEEvPT_PKS3_PKllPKT0_S8_lllllllS8_lll,@function
_ZN2at6native12_GLOBAL__N_137ctc_loss_backward_log_beta_gpu_kernelIflEEvPT_PKS3_PKllPKT0_S8_lllllllS8_lll: ; @_ZN2at6native12_GLOBAL__N_137ctc_loss_backward_log_beta_gpu_kernelIflEEvPT_PKS3_PKllPKT0_S8_lllllllS8_lll
; %bb.0:
	s_load_dword s2, s[4:5], 0x94
	s_load_dwordx4 s[24:27], s[4:5], 0x70
	s_add_u32 s0, s4, 0x88
	s_addc_u32 s1, s5, 0
	v_mov_b32_e32 v10, 0
	s_waitcnt lgkmcnt(0)
	s_lshr_b32 s2, s2, 16
	s_mul_i32 s7, s7, s2
	v_add_u32_e32 v9, s7, v1
	v_cmp_gt_i64_e32 vcc, s[26:27], v[9:10]
	s_and_saveexec_b64 s[2:3], vcc
	s_cbranch_execz .LBB11_43
; %bb.1:
	s_load_dwordx2 s[2:3], s[4:5], 0x10
	v_lshlrev_b64 v[3:4], 3, v[9:10]
	s_waitcnt lgkmcnt(0)
	v_mov_b32_e32 v2, s3
	v_add_co_u32_e32 v1, vcc, s2, v3
	v_addc_co_u32_e32 v2, vcc, v2, v4, vcc
	global_load_dwordx2 v[1:2], v[1:2], off
	s_waitcnt vmcnt(0)
	v_cmp_ne_u64_e32 vcc, 0, v[1:2]
	s_and_b64 exec, exec, vcc
	s_cbranch_execz .LBB11_43
; %bb.2:
	s_load_dwordx2 s[2:3], s[4:5], 0x28
	s_load_dwordx2 s[6:7], s[4:5], 0x68
	s_waitcnt lgkmcnt(0)
	v_mov_b32_e32 v6, s3
	v_add_co_u32_e32 v5, vcc, s2, v3
	v_addc_co_u32_e32 v6, vcc, v6, v4, vcc
	global_load_dwordx2 v[11:12], v[5:6], off
	v_mov_b32_e32 v5, s7
	v_add_co_u32_e32 v3, vcc, s6, v3
	v_addc_co_u32_e32 v4, vcc, v5, v4, vcc
	global_load_dwordx2 v[3:4], v[3:4], off
	s_load_dwordx8 s[8:15], s[4:5], 0x30
	s_load_dword s2, s[0:1], 0xc
	s_mov_b32 s0, 0
	s_waitcnt lgkmcnt(0)
	s_lshl_b64 s[26:27], s[8:9], 1
	s_and_b32 s33, s2, 0xffff
	s_mov_b32 s1, s27
	s_cmp_lg_u64 s[0:1], 0
	s_cbranch_scc0 .LBB11_44
; %bb.3:
	s_add_u32 s0, s33, 0
	s_addc_u32 s1, 0, 0
	s_xor_b64 s[2:3], s[0:1], 0
	v_cvt_f32_u32_e32 v5, s2
	v_cvt_f32_u32_e32 v6, s3
	s_sub_u32 s8, 0, s2
	s_subb_u32 s9, 0, s3
	v_madmk_f32 v5, v6, 0x4f800000, v5
	v_rcp_f32_e32 v5, v5
	v_mul_f32_e32 v5, 0x5f7ffffc, v5
	v_mul_f32_e32 v6, 0x2f800000, v5
	v_trunc_f32_e32 v6, v6
	v_madmk_f32 v5, v6, 0xcf800000, v5
	v_cvt_u32_f32_e32 v6, v6
	v_cvt_u32_f32_e32 v5, v5
	v_readfirstlane_b32 s16, v6
	v_readfirstlane_b32 s6, v5
	s_mul_i32 s7, s8, s16
	s_mul_hi_u32 s18, s8, s6
	s_mul_i32 s17, s9, s6
	s_add_i32 s7, s18, s7
	s_add_i32 s7, s7, s17
	s_mul_i32 s19, s8, s6
	s_mul_i32 s18, s6, s7
	s_mul_hi_u32 s20, s6, s19
	s_mul_hi_u32 s17, s6, s7
	s_add_u32 s18, s20, s18
	s_addc_u32 s17, 0, s17
	s_mul_hi_u32 s21, s16, s19
	s_mul_i32 s19, s16, s19
	s_add_u32 s18, s18, s19
	s_mul_hi_u32 s20, s16, s7
	s_addc_u32 s17, s17, s21
	s_addc_u32 s18, s20, 0
	s_mul_i32 s7, s16, s7
	s_add_u32 s7, s17, s7
	s_addc_u32 s17, 0, s18
	s_add_u32 s18, s6, s7
	s_cselect_b64 s[6:7], -1, 0
	s_cmp_lg_u64 s[6:7], 0
	s_addc_u32 s16, s16, s17
	s_mul_i32 s6, s8, s16
	s_mul_hi_u32 s7, s8, s18
	s_add_i32 s6, s7, s6
	s_mul_i32 s9, s9, s18
	s_add_i32 s6, s6, s9
	s_mul_i32 s8, s8, s18
	s_mul_hi_u32 s9, s16, s8
	s_mul_i32 s17, s16, s8
	s_mul_i32 s20, s18, s6
	s_mul_hi_u32 s8, s18, s8
	s_mul_hi_u32 s19, s18, s6
	s_add_u32 s8, s8, s20
	s_addc_u32 s19, 0, s19
	s_add_u32 s8, s8, s17
	s_mul_hi_u32 s7, s16, s6
	s_addc_u32 s8, s19, s9
	s_addc_u32 s7, s7, 0
	s_mul_i32 s6, s16, s6
	s_add_u32 s6, s8, s6
	s_addc_u32 s8, 0, s7
	s_add_u32 s17, s18, s6
	s_cselect_b64 s[6:7], -1, 0
	s_cmp_lg_u64 s[6:7], 0
	s_addc_u32 s16, s16, s8
	s_ashr_i32 s6, s27, 31
	s_add_u32 s8, s26, s6
	s_mov_b32 s7, s6
	s_addc_u32 s9, s27, s6
	s_xor_b64 s[8:9], s[8:9], s[6:7]
	s_mul_i32 s19, s8, s16
	s_mul_hi_u32 s20, s8, s17
	s_mul_hi_u32 s18, s8, s16
	s_add_u32 s19, s20, s19
	s_addc_u32 s18, 0, s18
	s_mul_hi_u32 s21, s9, s17
	s_mul_i32 s17, s9, s17
	s_add_u32 s17, s19, s17
	s_mul_hi_u32 s20, s9, s16
	s_addc_u32 s17, s18, s21
	s_addc_u32 s18, s20, 0
	s_mul_i32 s16, s9, s16
	s_add_u32 s16, s17, s16
	s_addc_u32 s17, 0, s18
	s_mul_i32 s17, s2, s17
	s_mul_hi_u32 s18, s2, s16
	s_add_i32 s17, s18, s17
	s_mul_i32 s18, s3, s16
	s_add_i32 s20, s17, s18
	s_sub_i32 s18, s9, s20
	s_mul_i32 s16, s2, s16
	s_sub_u32 s8, s8, s16
	s_cselect_b64 s[16:17], -1, 0
	s_cmp_lg_u64 s[16:17], 0
	s_subb_u32 s21, s18, s3
	s_sub_u32 s22, s8, s2
	s_cselect_b64 s[18:19], -1, 0
	s_cmp_lg_u64 s[18:19], 0
	s_subb_u32 s23, s21, 0
	s_cmp_ge_u32 s23, s3
	s_cselect_b32 s28, -1, 0
	s_cmp_ge_u32 s22, s2
	s_cselect_b32 s29, -1, 0
	s_cmp_eq_u32 s23, s3
	s_cselect_b32 s28, s29, s28
	s_cmp_lg_u64 s[18:19], 0
	s_subb_u32 s21, s21, s3
	s_sub_u32 s29, s22, s2
	s_cselect_b64 s[18:19], -1, 0
	s_cmp_lg_u64 s[18:19], 0
	s_subb_u32 s18, s21, 0
	s_cmp_lg_u32 s28, 0
	s_cselect_b32 s19, s29, s22
	s_cselect_b32 s18, s18, s23
	s_cmp_lg_u64 s[16:17], 0
	s_subb_u32 s9, s9, s20
	s_cmp_ge_u32 s9, s3
	s_cselect_b32 s16, -1, 0
	s_cmp_ge_u32 s8, s2
	s_cselect_b32 s2, -1, 0
	s_cmp_eq_u32 s9, s3
	s_cselect_b32 s2, s2, s16
	s_cmp_lg_u32 s2, 0
	s_cselect_b32 s3, s18, s9
	s_cselect_b32 s2, s19, s8
	s_xor_b64 s[2:3], s[2:3], s[6:7]
	s_sub_u32 s8, s2, s6
	s_subb_u32 s9, s3, s6
	s_cbranch_execnz .LBB11_5
.LBB11_4:
	v_cvt_f32_u32_e32 v5, s33
	s_sub_i32 s0, 0, s33
	s_mov_b32 s9, 0
	v_rcp_iflag_f32_e32 v5, v5
	v_mul_f32_e32 v5, 0x4f7ffffe, v5
	v_cvt_u32_f32_e32 v5, v5
	v_readfirstlane_b32 s1, v5
	s_mul_i32 s0, s0, s1
	s_mul_hi_u32 s0, s1, s0
	s_add_i32 s1, s1, s0
	s_mul_hi_u32 s0, s26, s1
	s_mul_i32 s0, s0, s33
	s_sub_i32 s0, s26, s0
	s_sub_i32 s1, s0, s33
	s_cmp_ge_u32 s0, s33
	s_cselect_b32 s0, s1, s0
	s_sub_i32 s1, s0, s33
	s_cmp_ge_u32 s0, s33
	s_cselect_b32 s8, s1, s0
.LBB11_5:
	s_sub_u32 s34, s26, s8
	s_subb_u32 s35, s27, s9
	v_cmp_lt_i64_e64 s[0:1], s[34:35], 0
	s_and_b64 vcc, exec, s[0:1]
	s_cbranch_vccnz .LBB11_43
; %bb.6:
	v_mad_u64_u32 v[7:8], s[0:1], s12, v9, 0
	s_load_dwordx2 s[0:1], s[4:5], 0x20
	s_load_dwordx4 s[28:31], s[4:5], 0x0
	v_mov_b32_e32 v5, v8
	v_mad_u64_u32 v[5:6], s[2:3], s13, v9, v[5:6]
	s_waitcnt vmcnt(0)
	v_lshlrev_b64 v[13:14], 3, v[3:4]
	v_add_co_u32_e32 v3, vcc, -1, v1
	v_addc_co_u32_e32 v4, vcc, -1, v2, vcc
	v_mul_lo_u32 v10, v4, s10
	v_mul_lo_u32 v17, v3, s11
	v_mad_u64_u32 v[15:16], s[2:3], v3, s10, 0
	v_mov_b32_e32 v8, v5
	s_waitcnt lgkmcnt(0)
	v_mov_b32_e32 v6, s1
	v_add_co_u32_e32 v31, vcc, s0, v13
	v_lshlrev_b64 v[19:20], 2, v[7:8]
	v_addc_co_u32_e32 v32, vcc, v6, v14, vcc
	v_lshlrev_b64 v[5:6], 1, v[11:12]
	v_add3_u32 v16, v16, v17, v10
	v_mov_b32_e32 v7, s31
	v_add_co_u32_e32 v10, vcc, s30, v19
	v_addc_co_u32_e32 v17, vcc, v7, v20, vcc
	v_add_co_u32_e32 v7, vcc, -1, v5
	v_addc_co_u32_e32 v8, vcc, -1, v6, vcc
	v_lshlrev_b64 v[13:14], 2, v[15:16]
	v_lshrrev_b32_e32 v15, 1, v8
	v_mul_lo_u32 v18, v15, s24
	v_alignbit_b32 v15, v8, v7, 1
	s_load_dwordx8 s[16:23], s[4:5], 0x50
	v_mul_lo_u32 v21, v15, s25
	v_mad_u64_u32 v[15:16], s[0:1], v15, s24, 0
	v_add_co_u32_e32 v30, vcc, v10, v13
	v_add3_u32 v16, v16, v21, v18
	s_waitcnt lgkmcnt(0)
	v_mad_u64_u32 v[21:22], s[0:1], s16, v9, 0
	v_addc_co_u32_e32 v33, vcc, v17, v14, vcc
	v_lshlrev_b64 v[13:14], 3, v[15:16]
	v_mov_b32_e32 v10, s27
	v_add_co_u32_e32 v15, vcc, s26, v0
	v_addc_co_u32_e32 v29, vcc, 0, v10, vcc
	v_mov_b32_e32 v10, s9
	v_subrev_co_u32_e64 v15, s[6:7], s8, v15
	v_subb_co_u32_e64 v16, vcc, v29, v10, s[6:7]
	v_mov_b32_e32 v10, v22
	v_mad_u64_u32 v[9:10], s[0:1], s17, v9, v[10:11]
	v_mul_lo_u32 v25, s21, v15
	v_mul_lo_u32 v26, s20, v16
	v_mad_u64_u32 v[17:18], s[0:1], s20, v15, 0
	v_mul_lo_u32 v10, s19, v3
	v_mul_lo_u32 v22, s18, v4
	v_mad_u64_u32 v[23:24], s[0:1], s18, v3, 0
	v_add3_u32 v18, v18, v26, v25
	v_add_co_u32_e32 v13, vcc, v31, v13
	v_add3_u32 v24, v24, v22, v10
	v_mov_b32_e32 v22, v9
	v_lshlrev_b64 v[17:18], 2, v[17:18]
	v_lshlrev_b64 v[9:10], 2, v[23:24]
	s_load_dwordx2 s[22:23], s[4:5], 0x80
	v_addc_co_u32_e32 v14, vcc, v32, v14, vcc
	v_add_co_u32_e32 v23, vcc, v17, v9
	v_addc_co_u32_e32 v24, vcc, v18, v10, vcc
	v_lshlrev_b64 v[9:10], 2, v[21:22]
	s_waitcnt lgkmcnt(0)
	s_mul_i32 s0, s22, s15
	v_add_co_u32_e32 v21, vcc, v23, v9
	s_mul_hi_u32 s1, s22, s14
	v_addc_co_u32_e32 v22, vcc, v24, v10, vcc
	s_add_i32 s0, s1, s0
	s_mul_i32 s1, s23, s14
	v_mov_b32_e32 v23, s29
	v_add_co_u32_e32 v21, vcc, s28, v21
	s_add_i32 s1, s0, s1
	s_mul_i32 s0, s22, s14
	v_addc_co_u32_e32 v22, vcc, v23, v22, vcc
	s_lshl_b64 s[0:1], s[0:1], 2
	v_mov_b32_e32 v24, s1
	v_add_co_u32_e32 v23, vcc, s0, v30
	v_addc_co_u32_e32 v24, vcc, v33, v24, vcc
	s_mul_i32 s0, s21, s33
	s_mul_hi_u32 s1, s20, s33
	s_add_i32 s1, s1, s0
	s_mul_i32 s0, s20, s33
	v_sub_co_u32_e32 v25, vcc, v5, v0
	s_lshl_b64 s[0:1], s[0:1], 2
	v_subbrev_co_u32_e32 v26, vcc, 0, v6, vcc
	s_sub_u32 s46, 0, s0
	v_add_co_u32_e32 v27, vcc, -1, v25
	s_subb_u32 s47, 0, s1
	v_addc_co_u32_e32 v28, vcc, -1, v26, vcc
	s_mov_b64 s[0:1], s[34:35]
	s_branch .LBB11_8
.LBB11_7:                               ;   in Loop: Header=BB11_8 Depth=1
	s_or_b64 exec, exec, s[2:3]
	s_sub_u32 s0, s0, s33
	s_subb_u32 s1, s1, 0
	s_waitcnt vmcnt(0)
	v_mov_b32_e32 v34, s47
	v_cmp_lt_i64_e64 s[2:3], s[0:1], 0
	v_add_co_u32_e32 v21, vcc, s46, v21
	v_addc_co_u32_e32 v22, vcc, v22, v34, vcc
	s_and_b64 vcc, exec, s[2:3]
	s_cbranch_vccnz .LBB11_16
.LBB11_8:                               ; =>This Inner Loop Header: Depth=1
	v_cmp_ne_u64_e32 vcc, s[0:1], v[25:26]
                                        ; implicit-def: $vgpr34
	s_and_saveexec_b64 s[2:3], vcc
	s_xor_b64 s[2:3], exec, s[2:3]
	s_cbranch_execz .LBB11_12
; %bb.9:                                ;   in Loop: Header=BB11_8 Depth=1
	v_cmp_eq_u64_e32 vcc, s[0:1], v[27:28]
	v_mov_b32_e32 v34, 0xff800000
	s_and_saveexec_b64 s[12:13], vcc
	s_cbranch_execz .LBB11_11
; %bb.10:                               ;   in Loop: Header=BB11_8 Depth=1
	global_load_dwordx2 v[34:35], v[13:14], off
	s_waitcnt vmcnt(0)
	v_mul_lo_u32 v36, v35, s14
	v_mul_lo_u32 v37, v34, s15
	v_mad_u64_u32 v[34:35], s[16:17], v34, s14, 0
	v_add3_u32 v35, v35, v37, v36
	v_lshlrev_b64 v[34:35], 2, v[34:35]
	v_add_co_u32_e32 v34, vcc, v30, v34
	v_addc_co_u32_e32 v35, vcc, v33, v35, vcc
	global_load_dword v34, v[34:35], off
.LBB11_11:                              ;   in Loop: Header=BB11_8 Depth=1
	s_or_b64 exec, exec, s[12:13]
.LBB11_12:                              ;   in Loop: Header=BB11_8 Depth=1
	s_andn2_saveexec_b64 s[2:3], s[2:3]
	s_cbranch_execz .LBB11_14
; %bb.13:                               ;   in Loop: Header=BB11_8 Depth=1
	global_load_dword v34, v[23:24], off
.LBB11_14:                              ;   in Loop: Header=BB11_8 Depth=1
	s_or_b64 exec, exec, s[2:3]
	v_mov_b32_e32 v36, s1
	v_add_co_u32_e32 v35, vcc, s0, v0
	v_addc_co_u32_e32 v36, vcc, 0, v36, vcc
	v_cmp_ge_i64_e32 vcc, s[26:27], v[35:36]
	s_and_saveexec_b64 s[2:3], vcc
	s_cbranch_execz .LBB11_7
; %bb.15:                               ;   in Loop: Header=BB11_8 Depth=1
	s_waitcnt vmcnt(0)
	global_store_dword v[21:22], v34, off
	s_branch .LBB11_7
.LBB11_16:
	s_load_dwordx2 s[4:5], s[4:5], 0x18
	v_cmp_lt_i64_e64 s[0:1], 0, v[11:12]
	v_cmp_ne_u64_e64 s[2:3], 0, v[11:12]
	v_lshlrev_b64 v[11:12], 2, v[15:16]
	s_mov_b32 s52, 0xff800000
	s_waitcnt lgkmcnt(0)
	s_add_u32 s36, s4, -2
	s_addc_u32 s37, s5, -1
	s_mul_hi_u32 s8, s18, s36
	s_mul_i32 s12, s18, s37
	s_add_i32 s8, s8, s12
	s_mul_i32 s12, s19, s36
	s_add_i32 s13, s8, s12
	s_mul_i32 s12, s18, s36
	s_lshl_b64 s[12:13], s[12:13], 2
	s_add_u32 s8, s28, s12
	s_addc_u32 s12, s29, s13
	v_mov_b32_e32 v14, s12
	s_lshl_b64 s[12:13], s[18:19], 2
	s_sub_u32 s48, 0, s12
	s_subb_u32 s49, 0, s13
	v_cmp_gt_i64_e64 s[38:39], s[4:5], 1
	s_add_u32 s4, s4, -1
	s_addc_u32 s5, s5, -1
	s_mul_i32 s5, s18, s5
	s_mul_hi_u32 s12, s18, s4
	s_add_i32 s5, s12, s5
	s_mul_i32 s12, s19, s4
	s_add_i32 s5, s5, s12
	s_mul_i32 s4, s18, s4
	s_lshl_b64 s[4:5], s[4:5], 2
	s_add_u32 s4, s28, s4
	v_add_co_u32_e32 v13, vcc, 4, v11
	s_addc_u32 s5, s29, s5
	v_addc_co_u32_e32 v16, vcc, 0, v12, vcc
	v_mov_b32_e32 v12, s5
	v_mov_b32_e32 v11, s4
	v_mad_u64_u32 v[11:12], s[12:13], s20, v13, v[11:12]
	v_mul_lo_u32 v16, s20, v16
	v_mul_lo_u32 v21, s21, v13
	v_add_co_u32_e32 v13, vcc, s8, v17
	v_addc_co_u32_e32 v14, vcc, v14, v18, vcc
	v_add3_u32 v12, v21, v12, v16
	v_mov_b32_e32 v21, s9
	v_subb_co_u32_e64 v21, vcc, v29, v21, s[6:7]
	v_add_co_u32_e32 v15, vcc, 2, v15
	v_addc_co_u32_e32 v21, vcc, 0, v21, vcc
	v_mul_lo_u32 v23, s21, v15
	v_mul_lo_u32 v24, s20, v21
	v_mad_u64_u32 v[21:22], s[6:7], s20, v15, 0
	v_mov_b32_e32 v16, s5
	v_add_co_u32_e32 v15, vcc, s4, v17
	v_add3_u32 v22, v22, v24, v23
	v_addc_co_u32_e32 v16, vcc, v16, v18, vcc
	v_lshlrev_b64 v[17:18], 2, v[21:22]
	v_mov_b32_e32 v21, s5
	v_add_co_u32_e32 v17, vcc, s4, v17
	s_mul_i32 s4, s10, s37
	s_mul_hi_u32 s5, s10, s36
	s_add_i32 s4, s5, s4
	s_mul_i32 s5, s11, s36
	s_add_i32 s5, s4, s5
	s_mul_i32 s4, s10, s36
	s_lshl_b64 s[4:5], s[4:5], 2
	s_add_u32 s4, s30, s4
	v_addc_co_u32_e32 v18, vcc, v21, v18, vcc
	s_addc_u32 s5, s31, s5
	v_mov_b32_e32 v21, s5
	v_add_co_u32_e32 v19, vcc, s4, v19
	s_lshl_b64 s[18:19], s[14:15], 2
	s_lshl_b64 s[4:5], s[10:11], 2
	s_sub_u32 s50, 0, s4
	v_addc_co_u32_e32 v20, vcc, v21, v20, vcc
	s_subb_u32 s51, 0, s5
	s_mov_b32 s53, 0x3fb8aa3b
	s_mov_b32 s54, 0xc2ce8ed0
	;; [unrolled: 1-line block ×6, first 2 shown]
	v_mov_b32_e32 v33, 0x7f800000
	s_branch .LBB11_18
.LBB11_17:                              ;   in Loop: Header=BB11_18 Depth=1
	v_mov_b32_e32 v21, s47
	v_add_co_u32_e32 v13, vcc, s46, v13
	v_addc_co_u32_e32 v14, vcc, v14, v21, vcc
	v_add_co_u32_e32 v11, vcc, s46, v11
	v_addc_co_u32_e32 v12, vcc, v12, v21, vcc
	s_sub_u32 s34, s34, s33
	v_add_co_u32_e32 v15, vcc, s46, v15
	s_subb_u32 s35, s35, 0
	v_addc_co_u32_e32 v16, vcc, v16, v21, vcc
	v_cmp_lt_i64_e64 s[4:5], s[34:35], 0
	v_add_co_u32_e32 v17, vcc, s46, v17
	v_addc_co_u32_e32 v18, vcc, v18, v21, vcc
	s_and_b64 vcc, exec, s[4:5]
	s_cbranch_vccnz .LBB11_43
.LBB11_18:                              ; =>This Loop Header: Depth=1
                                        ;     Child Loop BB11_29 Depth 2
	v_mov_b32_e32 v21, s35
	v_add_co_u32_e32 v23, vcc, s34, v0
	v_addc_co_u32_e32 v24, vcc, 0, v21, vcc
	v_cmp_le_i64_e64 s[6:7], v[23:24], v[5:6]
	s_waitcnt vmcnt(0)
	v_mov_b32_e32 v26, s23
	s_and_b64 s[4:5], s[0:1], s[6:7]
	v_mov_b32_e32 v25, s22
	s_mov_b64 s[20:21], 0
	s_and_saveexec_b64 s[8:9], s[4:5]
	s_cbranch_execz .LBB11_26
; %bb.19:                               ;   in Loop: Header=BB11_18 Depth=1
	v_and_b32_e32 v21, 1, v23
	v_mov_b32_e32 v26, s23
	v_cmp_eq_u32_e32 vcc, 1, v21
	v_mov_b32_e32 v25, s22
	s_and_saveexec_b64 s[10:11], vcc
	s_cbranch_execz .LBB11_21
; %bb.20:                               ;   in Loop: Header=BB11_18 Depth=1
	v_alignbit_b32 v21, v24, v23, 1
	v_lshrrev_b32_e32 v26, 1, v24
	v_mul_lo_u32 v25, v21, s25
	v_mad_u64_u32 v[21:22], s[4:5], v21, s24, 0
	v_mul_lo_u32 v26, v26, s24
	v_add3_u32 v22, v22, v25, v26
	v_lshlrev_b64 v[21:22], 3, v[21:22]
	v_add_co_u32_e64 v21, s[4:5], v31, v21
	v_addc_co_u32_e64 v22, s[4:5], v32, v22, s[4:5]
	global_load_dwordx2 v[25:26], v[21:22], off
.LBB11_21:                              ;   in Loop: Header=BB11_18 Depth=1
	s_or_b64 exec, exec, s[10:11]
	v_cmp_lt_i64_e64 s[4:5], v[23:24], v[7:8]
	s_mov_b64 s[12:13], 0
	s_and_saveexec_b64 s[10:11], s[4:5]
	s_cbranch_execz .LBB11_25
; %bb.22:                               ;   in Loop: Header=BB11_18 Depth=1
	v_mov_b32_e32 v21, s22
	v_mov_b32_e32 v22, s23
	s_and_saveexec_b64 s[4:5], vcc
	s_cbranch_execz .LBB11_24
; %bb.23:                               ;   in Loop: Header=BB11_18 Depth=1
	v_add_co_u32_e32 v21, vcc, 2, v23
	v_addc_co_u32_e32 v27, vcc, 0, v24, vcc
	v_alignbit_b32 v21, v27, v21, 1
	v_lshrrev_b32_e32 v27, 1, v27
	v_mul_lo_u32 v28, v21, s25
	v_mad_u64_u32 v[21:22], s[12:13], v21, s24, 0
	v_mul_lo_u32 v27, v27, s24
	v_add3_u32 v22, v22, v28, v27
	v_lshlrev_b64 v[21:22], 3, v[21:22]
	v_add_co_u32_e32 v21, vcc, v31, v21
	v_addc_co_u32_e32 v22, vcc, v32, v22, vcc
	global_load_dwordx2 v[21:22], v[21:22], off
.LBB11_24:                              ;   in Loop: Header=BB11_18 Depth=1
	s_or_b64 exec, exec, s[4:5]
	s_waitcnt vmcnt(0)
	v_cmp_ne_u64_e32 vcc, v[21:22], v[25:26]
	s_and_b64 s[12:13], vcc, exec
.LBB11_25:                              ;   in Loop: Header=BB11_18 Depth=1
	s_or_b64 exec, exec, s[10:11]
	s_and_b64 s[20:21], s[12:13], exec
.LBB11_26:                              ;   in Loop: Header=BB11_18 Depth=1
	s_or_b64 exec, exec, s[8:9]
	s_andn2_b64 vcc, exec, s[38:39]
	s_cbranch_vccnz .LBB11_17
; %bb.27:                               ;   in Loop: Header=BB11_18 Depth=1
	s_waitcnt vmcnt(0)
	v_mad_u64_u32 v[21:22], s[8:9], s18, v25, v[19:20]
	v_mul_lo_u32 v26, s18, v26
	v_mul_lo_u32 v25, s19, v25
	v_cmp_gt_i64_e64 s[4:5], 1, v[23:24]
	v_cmp_lt_i64_e32 vcc, s[26:27], v[23:24]
	s_or_b64 s[8:9], s[2:3], s[4:5]
	v_cmp_lt_i64_e64 s[4:5], v[23:24], v[5:6]
	v_add3_u32 v22, v25, v22, v26
	v_mov_b32_e32 v24, v18
	v_mov_b32_e32 v26, v16
	;; [unrolled: 1-line block ×4, first 2 shown]
	s_and_b64 s[28:29], s[8:9], s[6:7]
	s_xor_b64 s[30:31], s[6:7], -1
	v_mov_b32_e32 v23, v17
	v_mov_b32_e32 v25, v15
	;; [unrolled: 1-line block ×4, first 2 shown]
	s_mov_b64 s[40:41], s[36:37]
	s_branch .LBB11_29
.LBB11_28:                              ;   in Loop: Header=BB11_29 Depth=2
	s_or_b64 exec, exec, s[8:9]
	v_mov_b32_e32 v34, s49
	v_add_co_u32_e64 v29, s[6:7], s48, v29
	v_addc_co_u32_e64 v30, s[6:7], v30, v34, s[6:7]
	v_add_co_u32_e64 v27, s[6:7], s48, v27
	v_addc_co_u32_e64 v28, s[6:7], v28, v34, s[6:7]
	;; [unrolled: 2-line block ×3, first 2 shown]
	v_add_co_u32_e64 v23, s[6:7], s48, v23
	s_add_u32 s40, s40, -1
	v_addc_co_u32_e64 v24, s[6:7], v24, v34, s[6:7]
	s_addc_u32 s41, s41, -1
	v_mov_b32_e32 v34, s51
	v_add_co_u32_e64 v21, s[6:7], s50, v21
	s_cmp_eq_u64 s[40:41], -1
	v_addc_co_u32_e64 v22, s[6:7], v22, v34, s[6:7]
	s_cbranch_scc1 .LBB11_17
.LBB11_29:                              ;   Parent Loop BB11_18 Depth=1
                                        ; =>  This Inner Loop Header: Depth=2
	v_cmp_ge_i64_e64 s[6:7], s[40:41], v[3:4]
	s_mov_b64 s[42:43], 0
	s_or_b64 s[6:7], s[30:31], s[6:7]
	s_waitcnt vmcnt(0)
	s_barrier
	s_and_saveexec_b64 s[8:9], s[6:7]
	s_xor_b64 s[8:9], exec, s[8:9]
	s_cbranch_execnz .LBB11_32
; %bb.30:                               ;   in Loop: Header=BB11_29 Depth=2
	s_or_saveexec_b64 s[44:45], s[8:9]
	v_mov_b32_e32 v34, 0xff800000
	s_xor_b64 exec, exec, s[44:45]
	s_cbranch_execnz .LBB11_33
.LBB11_31:                              ;   in Loop: Header=BB11_29 Depth=2
	s_or_b64 exec, exec, s[44:45]
	s_and_saveexec_b64 s[8:9], s[42:43]
	s_cbranch_execz .LBB11_28
	s_branch .LBB11_42
.LBB11_32:                              ;   in Loop: Header=BB11_29 Depth=2
	v_cmp_lt_i64_e64 s[6:7], s[40:41], v[1:2]
	s_and_b64 s[6:7], s[6:7], s[28:29]
	s_nor_b64 s[6:7], vcc, s[6:7]
	s_and_b64 s[42:43], s[6:7], exec
	s_or_saveexec_b64 s[44:45], s[8:9]
	v_mov_b32_e32 v34, 0xff800000
	s_xor_b64 exec, exec, s[44:45]
	s_cbranch_execz .LBB11_31
.LBB11_33:                              ;   in Loop: Header=BB11_29 Depth=2
	v_add_co_u32_e64 v34, s[6:7], v25, v9
	v_addc_co_u32_e64 v35, s[6:7], v26, v10, s[6:7]
	global_load_dword v34, v[34:35], off
	v_mov_b32_e32 v35, 0xff800000
	v_mov_b32_e32 v36, 0xff800000
	s_waitcnt vmcnt(0)
	v_mov_b32_e32 v37, v34
	s_and_saveexec_b64 s[8:9], s[4:5]
	s_cbranch_execz .LBB11_37
; %bb.34:                               ;   in Loop: Header=BB11_29 Depth=2
	v_add_co_u32_e64 v36, s[6:7], v27, v9
	v_addc_co_u32_e64 v37, s[6:7], v28, v10, s[6:7]
	global_load_dword v36, v[36:37], off
	v_mov_b32_e32 v37, v34
	s_waitcnt vmcnt(0)
	v_cmp_gt_f32_e64 s[6:7], v36, v34
	s_and_saveexec_b64 s[10:11], s[6:7]
; %bb.35:                               ;   in Loop: Header=BB11_29 Depth=2
	v_mov_b32_e32 v37, v36
; %bb.36:                               ;   in Loop: Header=BB11_29 Depth=2
	s_or_b64 exec, exec, s[10:11]
.LBB11_37:                              ;   in Loop: Header=BB11_29 Depth=2
	s_or_b64 exec, exec, s[8:9]
	s_and_saveexec_b64 s[8:9], s[20:21]
	s_cbranch_execz .LBB11_41
; %bb.38:                               ;   in Loop: Header=BB11_29 Depth=2
	v_add_co_u32_e64 v38, s[6:7], v23, v9
	v_addc_co_u32_e64 v39, s[6:7], v24, v10, s[6:7]
	global_load_dword v35, v[38:39], off
	s_waitcnt vmcnt(0)
	v_cmp_gt_f32_e64 s[6:7], v35, v37
	s_and_saveexec_b64 s[10:11], s[6:7]
; %bb.39:                               ;   in Loop: Header=BB11_29 Depth=2
	v_mov_b32_e32 v37, v35
; %bb.40:                               ;   in Loop: Header=BB11_29 Depth=2
	s_or_b64 exec, exec, s[10:11]
.LBB11_41:                              ;   in Loop: Header=BB11_29 Depth=2
	s_or_b64 exec, exec, s[8:9]
	global_load_dword v38, v[21:22], off
	v_cmp_neq_f32_e64 s[6:7], s52, v37
	v_cndmask_b32_e64 v37, 0, v37, s[6:7]
	v_sub_f32_e32 v34, v34, v37
	v_sub_f32_e32 v36, v36, v37
	;; [unrolled: 1-line block ×3, first 2 shown]
	v_mul_f32_e32 v39, 0x3fb8aa3b, v34
	v_mul_f32_e32 v40, 0x3fb8aa3b, v36
	;; [unrolled: 1-line block ×3, first 2 shown]
	v_fma_f32 v42, v34, s53, -v39
	v_rndne_f32_e32 v43, v39
	v_fma_f32 v44, v36, s53, -v40
	v_rndne_f32_e32 v45, v40
	v_cmp_ngt_f32_e64 s[6:7], s54, v34
	v_cmp_ngt_f32_e64 s[8:9], s54, v36
	v_cmp_nlt_f32_e64 s[12:13], s55, v34
	v_cmp_nlt_f32_e64 s[14:15], s55, v36
	v_fma_f32 v46, v35, s53, -v41
	v_rndne_f32_e32 v47, v41
	v_fmac_f32_e32 v42, 0x32a5705f, v34
	v_sub_f32_e32 v34, v39, v43
	v_fmac_f32_e32 v44, 0x32a5705f, v36
	v_sub_f32_e32 v36, v40, v45
	;; [unrolled: 2-line block ×3, first 2 shown]
	v_add_f32_e32 v34, v34, v42
	v_add_f32_e32 v36, v36, v44
	v_cvt_i32_f32_e32 v39, v43
	v_cvt_i32_f32_e32 v40, v45
	v_add_f32_e32 v41, v41, v46
	v_exp_f32_e32 v34, v34
	v_exp_f32_e32 v36, v36
	v_cvt_i32_f32_e32 v43, v47
	v_exp_f32_e32 v41, v41
	v_cmp_ngt_f32_e64 s[10:11], s54, v35
	v_cmp_nlt_f32_e64 s[16:17], s55, v35
	v_ldexp_f32 v34, v34, v39
	v_ldexp_f32 v35, v36, v40
	;; [unrolled: 1-line block ×3, first 2 shown]
	v_cndmask_b32_e64 v34, 0, v34, s[6:7]
	v_cndmask_b32_e64 v35, 0, v35, s[8:9]
	;; [unrolled: 1-line block ×6, first 2 shown]
	v_add_f32_e32 v34, v34, v35
	v_add_f32_e32 v34, v36, v34
	v_cmp_gt_f32_e64 s[6:7], s57, v34
	v_cndmask_b32_e64 v35, 0, 32, s[6:7]
	v_ldexp_f32 v34, v34, v35
	v_log_f32_e32 v34, v34
	v_mov_b32_e32 v35, 0x41b17218
	v_cndmask_b32_e64 v35, 0, v35, s[6:7]
	s_or_b64 s[42:43], s[42:43], exec
	v_mul_f32_e32 v36, 0x3f317217, v34
	v_fma_f32 v36, v34, s58, -v36
	v_fmac_f32_e32 v36, 0x3377d1cf, v34
	v_cmp_lt_f32_e64 s[6:7], |v34|, s56
	v_fmac_f32_e32 v36, 0x3f317217, v34
	v_cndmask_b32_e64 v34, v34, v36, s[6:7]
	v_sub_f32_e32 v34, v34, v35
	v_add_f32_e32 v34, v37, v34
	s_waitcnt vmcnt(0)
	v_add_f32_e32 v34, v38, v34
	s_or_b64 exec, exec, s[44:45]
	s_and_saveexec_b64 s[8:9], s[42:43]
	s_cbranch_execz .LBB11_28
.LBB11_42:                              ;   in Loop: Header=BB11_29 Depth=2
	v_add_co_u32_e64 v35, s[6:7], v29, v9
	v_addc_co_u32_e64 v36, s[6:7], v30, v10, s[6:7]
	global_store_dword v[35:36], v34, off
	s_branch .LBB11_28
.LBB11_43:
	s_endpgm
.LBB11_44:
                                        ; implicit-def: $sgpr8_sgpr9
	s_branch .LBB11_4
	.section	.rodata,"a",@progbits
	.p2align	6, 0x0
	.amdhsa_kernel _ZN2at6native12_GLOBAL__N_137ctc_loss_backward_log_beta_gpu_kernelIflEEvPT_PKS3_PKllPKT0_S8_lllllllS8_lll
		.amdhsa_group_segment_fixed_size 0
		.amdhsa_private_segment_fixed_size 0
		.amdhsa_kernarg_size 392
		.amdhsa_user_sgpr_count 6
		.amdhsa_user_sgpr_private_segment_buffer 1
		.amdhsa_user_sgpr_dispatch_ptr 0
		.amdhsa_user_sgpr_queue_ptr 0
		.amdhsa_user_sgpr_kernarg_segment_ptr 1
		.amdhsa_user_sgpr_dispatch_id 0
		.amdhsa_user_sgpr_flat_scratch_init 0
		.amdhsa_user_sgpr_private_segment_size 0
		.amdhsa_uses_dynamic_stack 0
		.amdhsa_system_sgpr_private_segment_wavefront_offset 0
		.amdhsa_system_sgpr_workgroup_id_x 1
		.amdhsa_system_sgpr_workgroup_id_y 1
		.amdhsa_system_sgpr_workgroup_id_z 0
		.amdhsa_system_sgpr_workgroup_info 0
		.amdhsa_system_vgpr_workitem_id 1
		.amdhsa_next_free_vgpr 48
		.amdhsa_next_free_sgpr 59
		.amdhsa_reserve_vcc 1
		.amdhsa_reserve_flat_scratch 0
		.amdhsa_float_round_mode_32 0
		.amdhsa_float_round_mode_16_64 0
		.amdhsa_float_denorm_mode_32 3
		.amdhsa_float_denorm_mode_16_64 3
		.amdhsa_dx10_clamp 1
		.amdhsa_ieee_mode 1
		.amdhsa_fp16_overflow 0
		.amdhsa_exception_fp_ieee_invalid_op 0
		.amdhsa_exception_fp_denorm_src 0
		.amdhsa_exception_fp_ieee_div_zero 0
		.amdhsa_exception_fp_ieee_overflow 0
		.amdhsa_exception_fp_ieee_underflow 0
		.amdhsa_exception_fp_ieee_inexact 0
		.amdhsa_exception_int_div_zero 0
	.end_amdhsa_kernel
	.section	.text._ZN2at6native12_GLOBAL__N_137ctc_loss_backward_log_beta_gpu_kernelIflEEvPT_PKS3_PKllPKT0_S8_lllllllS8_lll,"axG",@progbits,_ZN2at6native12_GLOBAL__N_137ctc_loss_backward_log_beta_gpu_kernelIflEEvPT_PKS3_PKllPKT0_S8_lllllllS8_lll,comdat
.Lfunc_end11:
	.size	_ZN2at6native12_GLOBAL__N_137ctc_loss_backward_log_beta_gpu_kernelIflEEvPT_PKS3_PKllPKT0_S8_lllllllS8_lll, .Lfunc_end11-_ZN2at6native12_GLOBAL__N_137ctc_loss_backward_log_beta_gpu_kernelIflEEvPT_PKS3_PKllPKT0_S8_lllllllS8_lll
                                        ; -- End function
	.set _ZN2at6native12_GLOBAL__N_137ctc_loss_backward_log_beta_gpu_kernelIflEEvPT_PKS3_PKllPKT0_S8_lllllllS8_lll.num_vgpr, 48
	.set _ZN2at6native12_GLOBAL__N_137ctc_loss_backward_log_beta_gpu_kernelIflEEvPT_PKS3_PKllPKT0_S8_lllllllS8_lll.num_agpr, 0
	.set _ZN2at6native12_GLOBAL__N_137ctc_loss_backward_log_beta_gpu_kernelIflEEvPT_PKS3_PKllPKT0_S8_lllllllS8_lll.numbered_sgpr, 59
	.set _ZN2at6native12_GLOBAL__N_137ctc_loss_backward_log_beta_gpu_kernelIflEEvPT_PKS3_PKllPKT0_S8_lllllllS8_lll.num_named_barrier, 0
	.set _ZN2at6native12_GLOBAL__N_137ctc_loss_backward_log_beta_gpu_kernelIflEEvPT_PKS3_PKllPKT0_S8_lllllllS8_lll.private_seg_size, 0
	.set _ZN2at6native12_GLOBAL__N_137ctc_loss_backward_log_beta_gpu_kernelIflEEvPT_PKS3_PKllPKT0_S8_lllllllS8_lll.uses_vcc, 1
	.set _ZN2at6native12_GLOBAL__N_137ctc_loss_backward_log_beta_gpu_kernelIflEEvPT_PKS3_PKllPKT0_S8_lllllllS8_lll.uses_flat_scratch, 0
	.set _ZN2at6native12_GLOBAL__N_137ctc_loss_backward_log_beta_gpu_kernelIflEEvPT_PKS3_PKllPKT0_S8_lllllllS8_lll.has_dyn_sized_stack, 0
	.set _ZN2at6native12_GLOBAL__N_137ctc_loss_backward_log_beta_gpu_kernelIflEEvPT_PKS3_PKllPKT0_S8_lllllllS8_lll.has_recursion, 0
	.set _ZN2at6native12_GLOBAL__N_137ctc_loss_backward_log_beta_gpu_kernelIflEEvPT_PKS3_PKllPKT0_S8_lllllllS8_lll.has_indirect_call, 0
	.section	.AMDGPU.csdata,"",@progbits
; Kernel info:
; codeLenInByte = 3324
; TotalNumSgprs: 63
; NumVgprs: 48
; ScratchSize: 0
; MemoryBound: 0
; FloatMode: 240
; IeeeMode: 1
; LDSByteSize: 0 bytes/workgroup (compile time only)
; SGPRBlocks: 7
; VGPRBlocks: 11
; NumSGPRsForWavesPerEU: 63
; NumVGPRsForWavesPerEU: 48
; Occupancy: 5
; WaveLimiterHint : 1
; COMPUTE_PGM_RSRC2:SCRATCH_EN: 0
; COMPUTE_PGM_RSRC2:USER_SGPR: 6
; COMPUTE_PGM_RSRC2:TRAP_HANDLER: 0
; COMPUTE_PGM_RSRC2:TGID_X_EN: 1
; COMPUTE_PGM_RSRC2:TGID_Y_EN: 1
; COMPUTE_PGM_RSRC2:TGID_Z_EN: 0
; COMPUTE_PGM_RSRC2:TIDIG_COMP_CNT: 1
	.section	.text._ZN2at6native12_GLOBAL__N_145ctc_loss_backward_collect_nonblank_gpu_kernelIflEEvPT_PKS3_lS6_S6_S6_PKlPKT0_S8_S6_llllllllllllS8_llb,"axG",@progbits,_ZN2at6native12_GLOBAL__N_145ctc_loss_backward_collect_nonblank_gpu_kernelIflEEvPT_PKS3_lS6_S6_S6_PKlPKT0_S8_S6_llllllllllllS8_llb,comdat
	.globl	_ZN2at6native12_GLOBAL__N_145ctc_loss_backward_collect_nonblank_gpu_kernelIflEEvPT_PKS3_lS6_S6_S6_PKlPKT0_S8_S6_llllllllllllS8_llb ; -- Begin function _ZN2at6native12_GLOBAL__N_145ctc_loss_backward_collect_nonblank_gpu_kernelIflEEvPT_PKS3_lS6_S6_S6_PKlPKT0_S8_S6_llllllllllllS8_llb
	.p2align	8
	.type	_ZN2at6native12_GLOBAL__N_145ctc_loss_backward_collect_nonblank_gpu_kernelIflEEvPT_PKS3_lS6_S6_S6_PKlPKT0_S8_S6_llllllllllllS8_llb,@function
_ZN2at6native12_GLOBAL__N_145ctc_loss_backward_collect_nonblank_gpu_kernelIflEEvPT_PKS3_lS6_S6_S6_PKlPKT0_S8_S6_llllllllllllS8_llb: ; @_ZN2at6native12_GLOBAL__N_145ctc_loss_backward_collect_nonblank_gpu_kernelIflEEvPT_PKS3_lS6_S6_S6_PKlPKT0_S8_S6_llllllllllllS8_llb
; %bb.0:
	s_load_dword s0, s[4:5], 0xdc
	s_load_dwordx4 s[24:27], s[4:5], 0xb8
	v_mov_b32_e32 v3, 0
	s_waitcnt lgkmcnt(0)
	s_lshr_b32 s1, s0, 16
	s_mul_i32 s7, s7, s1
	v_add_u32_e32 v2, s7, v1
	v_cmp_gt_i64_e32 vcc, s[26:27], v[2:3]
	s_and_saveexec_b64 s[2:3], vcc
	s_cbranch_execz .LBB12_7
; %bb.1:
	s_load_dwordx2 s[2:3], s[4:5], 0x40
	v_lshlrev_b64 v[6:7], 3, v[2:3]
	s_and_b32 s0, s0, 0xffff
	s_waitcnt lgkmcnt(0)
	v_mov_b32_e32 v1, s3
	v_add_co_u32_e32 v4, vcc, s2, v6
	v_addc_co_u32_e32 v5, vcc, v1, v7, vcc
	global_load_dwordx2 v[8:9], v[4:5], off
	v_mov_b32_e32 v1, v3
	v_mov_b32_e32 v4, s6
	v_mad_u64_u32 v[4:5], s[0:1], s0, v4, v[0:1]
	s_waitcnt vmcnt(0)
	v_cmp_lt_i64_e32 vcc, v[4:5], v[8:9]
	s_and_b64 exec, exec, vcc
	s_cbranch_execz .LBB12_7
; %bb.2:
	s_load_dword s6, s[4:5], 0xc8
	s_load_dwordx2 s[0:1], s[4:5], 0x30
	s_load_dwordx2 s[2:3], s[4:5], 0x48
	s_mov_b32 s7, 0x7f800000
	s_waitcnt lgkmcnt(0)
	s_bitcmp1_b32 s6, 0
	v_mov_b32_e32 v0, s1
	v_add_co_u32_e32 v9, vcc, s0, v6
	v_addc_co_u32_e32 v10, vcc, v0, v7, vcc
	v_lshlrev_b64 v[0:1], 2, v[2:3]
	v_mov_b32_e32 v3, s3
	v_add_co_u32_e32 v11, vcc, s2, v0
	v_addc_co_u32_e32 v12, vcc, v3, v1, vcc
	global_load_dword v8, v[11:12], off
	global_load_dwordx2 v[0:1], v[9:10], off
	s_cselect_b64 s[0:1], -1, 0
	s_xor_b64 s[2:3], s[0:1], -1
	s_waitcnt vmcnt(1)
	v_cmp_neq_f32_e32 vcc, s7, v8
	s_waitcnt vmcnt(0)
	v_cmp_lt_i64_e64 s[0:1], 0, v[0:1]
	s_or_b64 s[6:7], s[2:3], vcc
	s_mov_b64 s[2:3], 0
	s_and_b64 s[0:1], s[6:7], s[0:1]
	s_and_b64 exec, exec, s[0:1]
	s_cbranch_execz .LBB12_7
; %bb.3:
	s_load_dwordx2 s[0:1], s[4:5], 0xb0
	v_mul_lo_u32 v11, v5, s24
	v_mul_lo_u32 v12, v4, s25
	v_mad_u64_u32 v[9:10], s[6:7], v4, s24, 0
	s_waitcnt lgkmcnt(0)
	v_mov_b32_e32 v3, s1
	v_add_co_u32_e32 v6, vcc, s0, v6
	v_addc_co_u32_e32 v7, vcc, v3, v7, vcc
	global_load_dwordx2 v[6:7], v[6:7], off
	s_load_dwordx8 s[36:43], s[4:5], 0x0
	s_load_dwordx2 s[0:1], s[4:5], 0x38
	s_load_dwordx16 s[8:23], s[4:5], 0x50
	v_add3_u32 v10, v10, v12, v11
	v_lshlrev_b64 v[3:4], 1, v[4:5]
	s_waitcnt lgkmcnt(0)
	v_mad_u64_u32 v[11:12], s[6:7], s40, v2, 0
	v_or_b32_e32 v5, 1, v3
	s_load_dwordx8 s[24:31], s[4:5], 0x90
	v_mov_b32_e32 v3, v12
	v_mad_u64_u32 v[17:18], s[6:7], s41, v2, v[3:4]
	v_mov_b32_e32 v19, s39
	s_waitcnt lgkmcnt(0)
	v_mul_lo_u32 v21, v4, s24
	v_mov_b32_e32 v12, v17
	v_lshlrev_b64 v[11:12], 2, v[11:12]
	v_mul_lo_u32 v23, v4, s30
	v_add_co_u32_e32 v11, vcc, s38, v11
	v_addc_co_u32_e32 v12, vcc, v19, v12, vcc
	v_mov_b32_e32 v20, s1
	v_lshlrev_b64 v[9:10], 3, v[9:10]
	v_mad_u64_u32 v[13:14], s[6:7], s10, v2, 0
	v_mad_u64_u32 v[15:16], s[6:7], s16, v2, 0
	v_mul_lo_u32 v22, v5, s25
	v_mad_u64_u32 v[17:18], s[6:7], v5, s24, 0
	s_mov_b32 s6, 0x3fb8aa3b
	s_mov_b32 s7, 0xc2ce8ed0
	v_add3_u32 v18, v18, v22, v21
	s_mov_b32 s10, 0x42b17218
	s_waitcnt vmcnt(0)
	v_lshlrev_b64 v[3:4], 3, v[6:7]
	v_mul_lo_u32 v6, v5, s31
	v_add_co_u32_e32 v3, vcc, s0, v3
	v_addc_co_u32_e32 v4, vcc, v20, v4, vcc
	v_add_co_u32_e32 v3, vcc, v3, v9
	v_addc_co_u32_e32 v4, vcc, v4, v10, vcc
	v_mad_u64_u32 v[9:10], s[0:1], v5, s30, 0
	v_mad_u64_u32 v[19:20], s[0:1], s20, v2, 0
	v_mov_b32_e32 v5, v14
	v_add3_u32 v10, v10, v6, v23
	v_mov_b32_e32 v6, v16
	v_mad_u64_u32 v[21:22], s[0:1], s11, v2, v[5:6]
	v_mad_u64_u32 v[5:6], s[0:1], s17, v2, v[6:7]
	v_mov_b32_e32 v6, v20
	v_mad_u64_u32 v[22:23], s[0:1], s21, v2, v[6:7]
	v_mad_u64_u32 v[23:24], s[0:1], s26, v2, 0
	v_mov_b32_e32 v16, v5
	v_mov_b32_e32 v14, v21
	;; [unrolled: 1-line block ×3, first 2 shown]
	v_mad_u64_u32 v[24:25], s[0:1], s27, v2, v[6:7]
	global_load_dwordx2 v[25:26], v[3:4], off
	global_load_dword v6, v[11:12], off
	s_load_dwordx4 s[24:27], s[4:5], 0x20
	v_lshlrev_b64 v[2:3], 2, v[15:16]
	v_mov_b32_e32 v20, v22
	v_mov_b32_e32 v21, s37
	v_lshlrev_b64 v[11:12], 2, v[19:20]
	s_waitcnt lgkmcnt(0)
	v_mov_b32_e32 v4, s27
	v_add_co_u32_e32 v15, vcc, s26, v2
	v_addc_co_u32_e32 v16, vcc, v4, v3, vcc
	v_lshlrev_b64 v[4:5], 2, v[9:10]
	v_lshlrev_b64 v[9:10], 2, v[13:14]
	;; [unrolled: 1-line block ×3, first 2 shown]
	v_add_co_u32_e32 v17, vcc, s36, v9
	v_addc_co_u32_e32 v18, vcc, v21, v10, vcc
	v_mov_b32_e32 v22, s43
	v_lshlrev_b64 v[13:14], 2, v[23:24]
	v_add_co_u32_e32 v9, vcc, s42, v11
	v_addc_co_u32_e32 v10, vcc, v22, v12, vcc
	v_mov_b32_e32 v27, s25
	v_add_co_u32_e32 v11, vcc, s24, v13
	v_addc_co_u32_e32 v12, vcc, v27, v14, vcc
	v_add_co_u32_e32 v9, vcc, v9, v2
	v_addc_co_u32_e32 v10, vcc, v10, v3, vcc
	;; [unrolled: 2-line block ×3, first 2 shown]
	v_mov_b32_e32 v7, 0x7f800000
	s_waitcnt vmcnt(1)
	v_mul_lo_u32 v19, v26, s18
	v_mul_lo_u32 v20, v25, s19
	v_mad_u64_u32 v[2:3], s[0:1], v25, s18, 0
	v_mul_lo_u32 v21, v26, s12
	v_mul_lo_u32 v22, v25, s13
	v_mad_u64_u32 v[13:14], s[0:1], v25, s12, 0
	v_add3_u32 v3, v3, v20, v19
	v_lshlrev_b64 v[2:3], 2, v[2:3]
	v_add3_u32 v14, v14, v22, v21
	v_lshlrev_b64 v[4:5], 2, v[13:14]
	v_add_co_u32_e32 v13, vcc, v15, v2
	v_addc_co_u32_e32 v14, vcc, v16, v3, vcc
	v_add_co_u32_e32 v15, vcc, v17, v4
	v_addc_co_u32_e32 v16, vcc, v18, v5, vcc
	s_mov_b64 s[0:1], 0
.LBB12_4:                               ; =>This Loop Header: Depth=1
                                        ;     Child Loop BB12_5 Depth 2
	s_mul_i32 s4, s0, s15
	s_mul_hi_u32 s5, s0, s14
	s_add_i32 s4, s5, s4
	s_mul_i32 s5, s1, s14
	s_add_i32 s5, s4, s5
	s_mul_i32 s4, s0, s14
	s_lshl_b64 s[4:5], s[4:5], 2
	v_mov_b32_e32 v4, s5
	s_mul_i32 s5, s0, s23
	s_mul_hi_u32 s11, s0, s22
	s_add_i32 s5, s11, s5
	s_mul_i32 s11, s1, s22
	s_add_i32 s13, s5, s11
	s_mul_i32 s12, s0, s22
	s_mul_i32 s5, s0, s29
	s_mul_hi_u32 s11, s0, s28
	s_lshl_b64 s[12:13], s[12:13], 2
	s_add_i32 s5, s11, s5
	s_mul_i32 s11, s1, s28
	v_mov_b32_e32 v3, s13
	v_add_co_u32_e32 v2, vcc, s12, v9
	s_add_i32 s13, s5, s11
	s_mul_i32 s12, s0, s28
	v_addc_co_u32_e32 v3, vcc, v10, v3, vcc
	s_lshl_b64 s[12:13], s[12:13], 2
	global_load_dword v17, v[2:3], off
	v_mov_b32_e32 v3, s13
	v_add_co_u32_e32 v2, vcc, s12, v11
	v_addc_co_u32_e32 v3, vcc, v12, v3, vcc
	global_load_dword v18, v[2:3], off
	v_add_co_u32_e32 v2, vcc, s4, v13
	v_addc_co_u32_e32 v3, vcc, v14, v4, vcc
	global_load_dword v4, v[2:3], off
	s_mul_i32 s4, s0, s9
	s_mul_hi_u32 s5, s0, s8
	s_add_i32 s4, s5, s4
	s_mul_i32 s5, s1, s8
	s_add_i32 s5, s4, s5
	s_mul_i32 s4, s0, s8
	s_lshl_b64 s[4:5], s[4:5], 2
	v_mov_b32_e32 v3, s5
	v_add_co_u32_e32 v2, vcc, s4, v15
	v_addc_co_u32_e32 v3, vcc, v16, v3, vcc
	global_load_dword v5, v[2:3], off
	s_mov_b64 s[4:5], 0
	s_waitcnt vmcnt(2)
	v_add_f32_e32 v17, v17, v18
	v_add_f32_e32 v17, v8, v17
	s_waitcnt vmcnt(1)
	v_sub_f32_e32 v4, v17, v4
	v_mul_f32_e32 v17, 0x3fb8aa3b, v4
	v_fma_f32 v18, v4, s6, -v17
	v_rndne_f32_e32 v19, v17
	v_fmac_f32_e32 v18, 0x32a5705f, v4
	v_sub_f32_e32 v17, v17, v19
	v_add_f32_e32 v17, v17, v18
	v_cvt_i32_f32_e32 v19, v19
	v_exp_f32_e32 v17, v17
	v_cmp_ngt_f32_e32 vcc, s7, v4
	v_ldexp_f32 v17, v17, v19
	v_cndmask_b32_e32 v17, 0, v17, vcc
	v_cmp_nlt_f32_e32 vcc, s10, v4
	v_cndmask_b32_e32 v4, v7, v17, vcc
	v_mul_f32_e64 v17, v6, -v4
.LBB12_5:                               ;   Parent Loop BB12_4 Depth=1
                                        ; =>  This Inner Loop Header: Depth=2
	s_waitcnt vmcnt(0)
	v_add_f32_e32 v4, v5, v17
	global_atomic_cmpswap v4, v[2:3], v[4:5], off glc
	s_waitcnt vmcnt(0)
	v_cmp_eq_u32_e32 vcc, v4, v5
	s_or_b64 s[4:5], vcc, s[4:5]
	v_mov_b32_e32 v5, v4
	s_andn2_b64 exec, exec, s[4:5]
	s_cbranch_execnz .LBB12_5
; %bb.6:                                ;   in Loop: Header=BB12_4 Depth=1
	s_or_b64 exec, exec, s[4:5]
	s_add_u32 s0, s0, 1
	s_addc_u32 s1, s1, 0
	v_cmp_eq_u64_e32 vcc, s[0:1], v[0:1]
	s_or_b64 s[2:3], vcc, s[2:3]
	s_andn2_b64 exec, exec, s[2:3]
	s_cbranch_execnz .LBB12_4
.LBB12_7:
	s_endpgm
	.section	.rodata,"a",@progbits
	.p2align	6, 0x0
	.amdhsa_kernel _ZN2at6native12_GLOBAL__N_145ctc_loss_backward_collect_nonblank_gpu_kernelIflEEvPT_PKS3_lS6_S6_S6_PKlPKT0_S8_S6_llllllllllllS8_llb
		.amdhsa_group_segment_fixed_size 0
		.amdhsa_private_segment_fixed_size 0
		.amdhsa_kernarg_size 464
		.amdhsa_user_sgpr_count 6
		.amdhsa_user_sgpr_private_segment_buffer 1
		.amdhsa_user_sgpr_dispatch_ptr 0
		.amdhsa_user_sgpr_queue_ptr 0
		.amdhsa_user_sgpr_kernarg_segment_ptr 1
		.amdhsa_user_sgpr_dispatch_id 0
		.amdhsa_user_sgpr_flat_scratch_init 0
		.amdhsa_user_sgpr_private_segment_size 0
		.amdhsa_uses_dynamic_stack 0
		.amdhsa_system_sgpr_private_segment_wavefront_offset 0
		.amdhsa_system_sgpr_workgroup_id_x 1
		.amdhsa_system_sgpr_workgroup_id_y 1
		.amdhsa_system_sgpr_workgroup_id_z 0
		.amdhsa_system_sgpr_workgroup_info 0
		.amdhsa_system_vgpr_workitem_id 1
		.amdhsa_next_free_vgpr 28
		.amdhsa_next_free_sgpr 44
		.amdhsa_reserve_vcc 1
		.amdhsa_reserve_flat_scratch 0
		.amdhsa_float_round_mode_32 0
		.amdhsa_float_round_mode_16_64 0
		.amdhsa_float_denorm_mode_32 3
		.amdhsa_float_denorm_mode_16_64 3
		.amdhsa_dx10_clamp 1
		.amdhsa_ieee_mode 1
		.amdhsa_fp16_overflow 0
		.amdhsa_exception_fp_ieee_invalid_op 0
		.amdhsa_exception_fp_denorm_src 0
		.amdhsa_exception_fp_ieee_div_zero 0
		.amdhsa_exception_fp_ieee_overflow 0
		.amdhsa_exception_fp_ieee_underflow 0
		.amdhsa_exception_fp_ieee_inexact 0
		.amdhsa_exception_int_div_zero 0
	.end_amdhsa_kernel
	.section	.text._ZN2at6native12_GLOBAL__N_145ctc_loss_backward_collect_nonblank_gpu_kernelIflEEvPT_PKS3_lS6_S6_S6_PKlPKT0_S8_S6_llllllllllllS8_llb,"axG",@progbits,_ZN2at6native12_GLOBAL__N_145ctc_loss_backward_collect_nonblank_gpu_kernelIflEEvPT_PKS3_lS6_S6_S6_PKlPKT0_S8_S6_llllllllllllS8_llb,comdat
.Lfunc_end12:
	.size	_ZN2at6native12_GLOBAL__N_145ctc_loss_backward_collect_nonblank_gpu_kernelIflEEvPT_PKS3_lS6_S6_S6_PKlPKT0_S8_S6_llllllllllllS8_llb, .Lfunc_end12-_ZN2at6native12_GLOBAL__N_145ctc_loss_backward_collect_nonblank_gpu_kernelIflEEvPT_PKS3_lS6_S6_S6_PKlPKT0_S8_S6_llllllllllllS8_llb
                                        ; -- End function
	.set _ZN2at6native12_GLOBAL__N_145ctc_loss_backward_collect_nonblank_gpu_kernelIflEEvPT_PKS3_lS6_S6_S6_PKlPKT0_S8_S6_llllllllllllS8_llb.num_vgpr, 28
	.set _ZN2at6native12_GLOBAL__N_145ctc_loss_backward_collect_nonblank_gpu_kernelIflEEvPT_PKS3_lS6_S6_S6_PKlPKT0_S8_S6_llllllllllllS8_llb.num_agpr, 0
	.set _ZN2at6native12_GLOBAL__N_145ctc_loss_backward_collect_nonblank_gpu_kernelIflEEvPT_PKS3_lS6_S6_S6_PKlPKT0_S8_S6_llllllllllllS8_llb.numbered_sgpr, 44
	.set _ZN2at6native12_GLOBAL__N_145ctc_loss_backward_collect_nonblank_gpu_kernelIflEEvPT_PKS3_lS6_S6_S6_PKlPKT0_S8_S6_llllllllllllS8_llb.num_named_barrier, 0
	.set _ZN2at6native12_GLOBAL__N_145ctc_loss_backward_collect_nonblank_gpu_kernelIflEEvPT_PKS3_lS6_S6_S6_PKlPKT0_S8_S6_llllllllllllS8_llb.private_seg_size, 0
	.set _ZN2at6native12_GLOBAL__N_145ctc_loss_backward_collect_nonblank_gpu_kernelIflEEvPT_PKS3_lS6_S6_S6_PKlPKT0_S8_S6_llllllllllllS8_llb.uses_vcc, 1
	.set _ZN2at6native12_GLOBAL__N_145ctc_loss_backward_collect_nonblank_gpu_kernelIflEEvPT_PKS3_lS6_S6_S6_PKlPKT0_S8_S6_llllllllllllS8_llb.uses_flat_scratch, 0
	.set _ZN2at6native12_GLOBAL__N_145ctc_loss_backward_collect_nonblank_gpu_kernelIflEEvPT_PKS3_lS6_S6_S6_PKlPKT0_S8_S6_llllllllllllS8_llb.has_dyn_sized_stack, 0
	.set _ZN2at6native12_GLOBAL__N_145ctc_loss_backward_collect_nonblank_gpu_kernelIflEEvPT_PKS3_lS6_S6_S6_PKlPKT0_S8_S6_llllllllllllS8_llb.has_recursion, 0
	.set _ZN2at6native12_GLOBAL__N_145ctc_loss_backward_collect_nonblank_gpu_kernelIflEEvPT_PKS3_lS6_S6_S6_PKlPKT0_S8_S6_llllllllllllS8_llb.has_indirect_call, 0
	.section	.AMDGPU.csdata,"",@progbits
; Kernel info:
; codeLenInByte = 1260
; TotalNumSgprs: 48
; NumVgprs: 28
; ScratchSize: 0
; MemoryBound: 0
; FloatMode: 240
; IeeeMode: 1
; LDSByteSize: 0 bytes/workgroup (compile time only)
; SGPRBlocks: 5
; VGPRBlocks: 6
; NumSGPRsForWavesPerEU: 48
; NumVGPRsForWavesPerEU: 28
; Occupancy: 9
; WaveLimiterHint : 1
; COMPUTE_PGM_RSRC2:SCRATCH_EN: 0
; COMPUTE_PGM_RSRC2:USER_SGPR: 6
; COMPUTE_PGM_RSRC2:TRAP_HANDLER: 0
; COMPUTE_PGM_RSRC2:TGID_X_EN: 1
; COMPUTE_PGM_RSRC2:TGID_Y_EN: 1
; COMPUTE_PGM_RSRC2:TGID_Z_EN: 0
; COMPUTE_PGM_RSRC2:TIDIG_COMP_CNT: 1
	.section	.text._ZN2at6native12_GLOBAL__N_136ctc_loss_backward_collect_gpu_kernelIflEEvPT_PKS3_lS6_S6_S6_PKllPKT0_S8_lS6_llllllllllllS8_llllb,"axG",@progbits,_ZN2at6native12_GLOBAL__N_136ctc_loss_backward_collect_gpu_kernelIflEEvPT_PKS3_lS6_S6_S6_PKllPKT0_S8_lS6_llllllllllllS8_llllb,comdat
	.globl	_ZN2at6native12_GLOBAL__N_136ctc_loss_backward_collect_gpu_kernelIflEEvPT_PKS3_lS6_S6_S6_PKllPKT0_S8_lS6_llllllllllllS8_llllb ; -- Begin function _ZN2at6native12_GLOBAL__N_136ctc_loss_backward_collect_gpu_kernelIflEEvPT_PKS3_lS6_S6_S6_PKllPKT0_S8_lS6_llllllllllllS8_llllb
	.p2align	8
	.type	_ZN2at6native12_GLOBAL__N_136ctc_loss_backward_collect_gpu_kernelIflEEvPT_PKS3_lS6_S6_S6_PKllPKT0_S8_lS6_llllllllllllS8_llllb,@function
_ZN2at6native12_GLOBAL__N_136ctc_loss_backward_collect_gpu_kernelIflEEvPT_PKS3_lS6_S6_S6_PKllPKT0_S8_lS6_llllllllllllS8_llllb: ; @_ZN2at6native12_GLOBAL__N_136ctc_loss_backward_collect_gpu_kernelIflEEvPT_PKS3_lS6_S6_S6_PKllPKT0_S8_lS6_llllllllllllS8_llllb
; %bb.0:
	s_load_dword s8, s[4:5], 0xfc
	s_load_dwordx2 s[0:1], s[4:5], 0x38
	s_load_dwordx8 s[24:31], s[4:5], 0xc8
	v_mov_b32_e32 v3, 0
	v_mov_b32_e32 v2, v1
	;; [unrolled: 1-line block ×3, first 2 shown]
	s_waitcnt lgkmcnt(0)
	s_and_b32 s2, s8, 0xffff
	v_mov_b32_e32 v4, s6
	v_mad_u64_u32 v[0:1], s[2:3], s2, v4, v[0:1]
	s_lshr_b32 s2, s8, 16
	s_mul_i32 s7, s7, s2
	v_add_u32_e32 v2, s7, v2
	v_cmp_gt_i64_e32 vcc, s[0:1], v[0:1]
	v_cmp_gt_i64_e64 s[0:1], s[26:27], v[2:3]
	s_and_b64 s[0:1], vcc, s[0:1]
	s_and_saveexec_b64 s[2:3], s[0:1]
	s_cbranch_execz .LBB13_15
; %bb.1:
	s_load_dwordx2 s[0:1], s[4:5], 0x30
	s_load_dwordx2 s[26:27], s[4:5], 0x50
	v_lshlrev_b64 v[8:9], 3, v[2:3]
	s_load_dwordx16 s[8:23], s[4:5], 0x60
	s_load_dwordx2 s[6:7], s[4:5], 0x0
	s_waitcnt lgkmcnt(0)
	v_mov_b32_e32 v5, s1
	v_add_co_u32_e32 v4, vcc, s0, v8
	v_addc_co_u32_e32 v5, vcc, v5, v9, vcc
	global_load_dwordx2 v[4:5], v[4:5], off
	v_mad_u64_u32 v[6:7], s[0:1], s10, v2, 0
	v_mul_lo_u32 v16, v1, s8
	v_mul_lo_u32 v17, v0, s9
	v_mad_u64_u32 v[10:11], s[0:1], s11, v2, v[7:8]
	v_cmp_lt_i64_e64 s[0:1], s[26:27], 0
	s_mov_b64 s[10:11], 0
	v_mov_b32_e32 v7, v10
	v_lshlrev_b64 v[6:7], 2, v[6:7]
	s_and_b64 vcc, exec, s[0:1]
	s_cbranch_vccnz .LBB13_10
; %bb.2:
	s_load_dwordx2 s[34:35], s[4:5], 0xc0
	s_load_dwordx4 s[0:3], s[4:5], 0x40
	s_load_dwordx4 s[44:47], s[4:5], 0x18
	v_mul_lo_u32 v20, v1, s22
	v_mul_lo_u32 v21, v0, s23
	s_waitcnt lgkmcnt(0)
	v_mov_b32_e32 v11, s35
	v_add_co_u32_e32 v10, vcc, s34, v8
	v_addc_co_u32_e32 v11, vcc, v11, v9, vcc
	v_mov_b32_e32 v12, s3
	v_add_co_u32_e32 v8, vcc, s2, v8
	v_addc_co_u32_e32 v9, vcc, v12, v9, vcc
	global_load_dwordx2 v[12:13], v[8:9], off
	global_load_dwordx2 v[14:15], v[10:11], off
	v_mad_u64_u32 v[10:11], s[2:3], v0, s22, 0
	v_mad_u64_u32 v[18:19], s[22:23], v0, s8, 0
	;; [unrolled: 1-line block ×3, first 2 shown]
	s_load_dwordx8 s[36:43], s[4:5], 0xa0
	v_add3_u32 v19, v19, v17, v16
	v_mov_b32_e32 v22, s7
	v_add_co_u32_e32 v23, vcc, s6, v6
	v_lshlrev_b64 v[18:19], 2, v[18:19]
	v_addc_co_u32_e32 v24, vcc, v22, v7, vcc
	v_add3_u32 v11, v11, v21, v20
	v_mad_u64_u32 v[20:21], s[20:21], s21, v2, v[9:10]
	v_add_co_u32_e32 v18, vcc, v23, v18
	v_addc_co_u32_e32 v19, vcc, v24, v19, vcc
	s_waitcnt lgkmcnt(0)
	v_mad_u64_u32 v[23:24], s[20:21], s38, v2, 0
	v_mul_lo_u32 v25, v1, s40
	v_mul_lo_u32 v27, v0, s41
	v_mad_u64_u32 v[21:22], s[20:21], v0, s40, 0
	v_mov_b32_e32 v9, v20
	v_mov_b32_e32 v20, v24
	v_lshlrev_b64 v[8:9], 2, v[8:9]
	v_add3_u32 v22, v22, v27, v25
	v_mad_u64_u32 v[24:25], s[34:35], s39, v2, v[20:21]
	v_mov_b32_e32 v26, s45
	v_lshlrev_b64 v[10:11], 2, v[10:11]
	v_add_co_u32_e32 v8, vcc, s44, v8
	v_addc_co_u32_e32 v9, vcc, v26, v9, vcc
	v_add_co_u32_e32 v8, vcc, v8, v10
	v_addc_co_u32_e32 v9, vcc, v9, v11, vcc
	v_lshlrev_b64 v[10:11], 2, v[23:24]
	v_mov_b32_e32 v28, s47
	v_lshlrev_b64 v[20:21], 2, v[21:22]
	v_add_co_u32_e32 v10, vcc, s46, v10
	v_addc_co_u32_e32 v11, vcc, v28, v11, vcc
	v_add_co_u32_e32 v10, vcc, v10, v20
	v_addc_co_u32_e32 v11, vcc, v11, v21, vcc
	v_mov_b32_e32 v29, s1
	s_lshl_b64 s[2:3], s[26:27], 1
	s_mov_b32 s23, 0
	s_mov_b32 s9, 0xff800000
	;; [unrolled: 1-line block ×7, first 2 shown]
	s_lshl_b64 s[20:21], s[36:37], 2
	s_lshl_b64 s[26:27], s[42:43], 2
	s_mov_b32 s38, 0x3f317217
	v_mov_b32_e32 v22, 0x7f800000
	v_mov_b32_e32 v23, 0x41b17218
	s_waitcnt vmcnt(1)
	v_lshlrev_b64 v[12:13], 1, v[12:13]
	s_waitcnt vmcnt(0)
	v_lshlrev_b64 v[14:15], 3, v[14:15]
	v_add_co_u32_e32 v20, vcc, s0, v14
	v_addc_co_u32_e32 v21, vcc, v29, v15, vcc
	s_branch .LBB13_5
.LBB13_3:                               ;   in Loop: Header=BB13_5 Depth=1
	s_or_b64 exec, exec, s[36:37]
	global_store_dword v[14:15], v24, off
.LBB13_4:                               ;   in Loop: Header=BB13_5 Depth=1
	s_or_b64 exec, exec, s[34:35]
	s_add_u32 s10, s10, 1
	s_addc_u32 s11, s11, 0
	v_mov_b32_e32 v14, s21
	v_add_co_u32_e32 v8, vcc, s20, v8
	v_addc_co_u32_e32 v9, vcc, v9, v14, vcc
	v_mov_b32_e32 v15, s11
	v_mov_b32_e32 v14, s10
	v_cmp_lt_i64_e32 vcc, s[2:3], v[14:15]
	v_mov_b32_e32 v24, s27
	v_add_co_u32_e64 v10, s[0:1], s26, v10
	v_addc_co_u32_e64 v11, s[0:1], v11, v24, s[0:1]
	s_cbranch_vccnz .LBB13_10
.LBB13_5:                               ; =>This Inner Loop Header: Depth=1
	v_cmp_le_i64_e32 vcc, s[10:11], v[12:13]
	s_and_saveexec_b64 s[34:35], vcc
	s_cbranch_execz .LBB13_4
; %bb.6:                                ;   in Loop: Header=BB13_5 Depth=1
	s_and_b32 s22, s10, 1
	v_mov_b32_e32 v14, s30
	s_cmp_eq_u64 s[22:23], 0
	v_mov_b32_e32 v15, s31
	s_cbranch_scc1 .LBB13_8
; %bb.7:                                ;   in Loop: Header=BB13_5 Depth=1
	s_lshr_b64 s[0:1], s[10:11], 1
	s_lshr_b32 s1, s11, 1
	s_mul_i32 s1, s24, s1
	s_mul_hi_u32 s22, s24, s0
	s_add_i32 s1, s22, s1
	s_mul_i32 s22, s25, s0
	s_add_i32 s1, s1, s22
	s_mul_i32 s0, s24, s0
	s_lshl_b64 s[0:1], s[0:1], 3
	v_mov_b32_e32 v15, s1
	v_add_co_u32_e32 v14, vcc, s0, v20
	v_addc_co_u32_e32 v15, vcc, v21, v15, vcc
	global_load_dwordx2 v[14:15], v[14:15], off
.LBB13_8:                               ;   in Loop: Header=BB13_5 Depth=1
	s_waitcnt vmcnt(0)
	v_mul_lo_u32 v24, v15, s12
	v_mul_lo_u32 v25, v14, s13
	v_mad_u64_u32 v[14:15], s[0:1], v14, s12, 0
	global_load_dword v26, v[8:9], off
	global_load_dword v27, v[10:11], off
	v_add3_u32 v15, v15, v25, v24
	v_lshlrev_b64 v[14:15], 2, v[14:15]
	v_add_co_u32_e32 v14, vcc, v18, v14
	v_addc_co_u32_e32 v15, vcc, v19, v15, vcc
	global_load_dword v25, v[14:15], off
	s_waitcnt vmcnt(1)
	v_add_f32_e32 v24, v26, v27
	s_waitcnt vmcnt(0)
	v_cmp_neq_f32_e32 vcc, s9, v25
	s_and_saveexec_b64 s[36:37], vcc
	s_cbranch_execz .LBB13_3
; %bb.9:                                ;   in Loop: Header=BB13_5 Depth=1
	v_cmp_gt_f32_e32 vcc, v25, v24
	v_cndmask_b32_e32 v26, v24, v25, vcc
	v_sub_f32_e32 v25, v25, v26
	v_mul_f32_e32 v27, 0x3fb8aa3b, v25
	v_fma_f32 v28, v25, s33, -v27
	v_rndne_f32_e32 v29, v27
	v_fmac_f32_e32 v28, 0x32a5705f, v25
	v_sub_f32_e32 v27, v27, v29
	v_add_f32_e32 v27, v27, v28
	v_cvt_i32_f32_e32 v28, v29
	v_exp_f32_e32 v27, v27
	v_sub_f32_e32 v24, v24, v26
	v_cmp_ngt_f32_e32 vcc, s48, v25
	v_ldexp_f32 v27, v27, v28
	v_mul_f32_e32 v28, 0x3fb8aa3b, v24
	v_fma_f32 v29, v24, s33, -v28
	v_rndne_f32_e32 v30, v28
	v_fmac_f32_e32 v29, 0x32a5705f, v24
	v_sub_f32_e32 v28, v28, v30
	v_add_f32_e32 v28, v28, v29
	v_exp_f32_e32 v28, v28
	v_cvt_i32_f32_e32 v29, v30
	v_cndmask_b32_e32 v27, 0, v27, vcc
	v_cmp_nlt_f32_e32 vcc, s49, v25
	v_cndmask_b32_e32 v25, v22, v27, vcc
	v_ldexp_f32 v27, v28, v29
	v_cmp_ngt_f32_e32 vcc, s48, v24
	v_cndmask_b32_e32 v27, 0, v27, vcc
	v_cmp_nlt_f32_e32 vcc, s49, v24
	v_cndmask_b32_e32 v24, v22, v27, vcc
	v_add_f32_e32 v24, v25, v24
	v_cmp_gt_f32_e32 vcc, s51, v24
	v_cndmask_b32_e64 v25, 0, 32, vcc
	v_ldexp_f32 v24, v24, v25
	v_log_f32_e32 v24, v24
	v_mul_f32_e32 v25, 0x3f317217, v24
	v_fma_f32 v25, v24, s38, -v25
	v_fmac_f32_e32 v25, 0x3377d1cf, v24
	v_fmac_f32_e32 v25, 0x3f317217, v24
	v_cmp_lt_f32_e64 s[0:1], |v24|, s50
	v_cndmask_b32_e64 v24, v24, v25, s[0:1]
	v_cndmask_b32_e32 v25, 0, v23, vcc
	v_sub_f32_e32 v24, v24, v25
	v_add_f32_e32 v24, v26, v24
	s_branch .LBB13_3
.LBB13_10:
	v_cmp_lt_i64_e64 s[0:1], s[28:29], 1
	s_and_b64 vcc, exec, s[0:1]
	s_cbranch_vccnz .LBB13_15
; %bb.11:
	s_load_dwordx2 s[10:11], s[4:5], 0x58
	s_load_dwordx4 s[0:3], s[4:5], 0x8
	s_load_dwordx2 s[20:21], s[4:5], 0x28
	s_load_dword s9, s[4:5], 0xe8
	v_lshlrev_b64 v[8:9], 2, v[2:3]
	s_waitcnt lgkmcnt(0)
	v_mov_b32_e32 v3, s11
	v_mad_u64_u32 v[10:11], s[4:5], s2, v2, 0
	v_add_co_u32_e32 v8, vcc, s10, v8
	v_addc_co_u32_e32 v9, vcc, v3, v9, vcc
	v_mov_b32_e32 v3, v11
	s_waitcnt vmcnt(0)
	v_mad_u64_u32 v[11:12], s[2:3], s3, v2, v[3:4]
	global_load_dword v8, v[8:9], off
	v_mov_b32_e32 v3, s1
	v_lshlrev_b64 v[9:10], 2, v[10:11]
	s_bitcmp1_b32 s9, 0
	v_add_co_u32_e32 v9, vcc, s0, v9
	v_addc_co_u32_e32 v10, vcc, v3, v10, vcc
	global_load_dword v9, v[9:10], off
	v_mad_u64_u32 v[10:11], s[0:1], s16, v2, 0
	v_cmp_lt_i64_e32 vcc, v[0:1], v[4:5]
	v_mul_lo_u32 v4, v1, s14
	v_mad_u64_u32 v[12:13], s[0:1], v0, s8, 0
	v_mul_lo_u32 v5, v0, s15
	v_mad_u64_u32 v[0:1], s[0:1], v0, s14, 0
	v_mov_b32_e32 v3, s7
	v_add_co_u32_e64 v14, s[0:1], s6, v6
	v_addc_co_u32_e64 v7, s[0:1], v3, v7, s[0:1]
	v_mov_b32_e32 v3, v11
	v_mad_u64_u32 v[2:3], s[0:1], s17, v2, v[3:4]
	v_add3_u32 v13, v13, v17, v16
	v_add3_u32 v1, v1, v5, v4
	v_lshlrev_b64 v[3:4], 2, v[12:13]
	s_cselect_b64 s[0:1], -1, 0
	v_mov_b32_e32 v11, v2
	v_lshlrev_b64 v[5:6], 2, v[0:1]
	s_xor_b64 s[2:3], s[0:1], -1
	v_add_co_u32_e64 v0, s[0:1], v14, v3
	v_lshlrev_b64 v[2:3], 2, v[10:11]
	v_addc_co_u32_e64 v1, s[0:1], v7, v4, s[0:1]
	v_mov_b32_e32 v12, s21
	v_add_co_u32_e64 v2, s[0:1], s20, v2
	s_mov_b32 s4, 0x7f800000
	v_addc_co_u32_e64 v3, s[0:1], v12, v3, s[0:1]
	s_mov_b32 s8, 0x3fb8aa3b
	s_mov_b32 s9, 0xc2ce8ed0
	;; [unrolled: 1-line block ×3, first 2 shown]
	v_mov_b32_e32 v4, 0x7f800000
	s_waitcnt vmcnt(1)
	v_cmp_neq_f32_e64 s[0:1], s4, v8
	s_or_b64 s[0:1], s[2:3], s[0:1]
	s_and_b64 s[0:1], vcc, s[0:1]
	v_add_co_u32_e32 v2, vcc, v2, v5
	v_addc_co_u32_e32 v3, vcc, v3, v6, vcc
	s_lshl_b64 s[2:3], s[18:19], 2
	s_lshl_b64 s[4:5], s[12:13], 2
	s_branch .LBB13_13
.LBB13_12:                              ;   in Loop: Header=BB13_13 Depth=1
	s_or_b64 exec, exec, s[6:7]
	global_store_dword v[0:1], v5, off
	v_mov_b32_e32 v5, s3
	v_add_co_u32_e32 v2, vcc, s2, v2
	s_add_u32 s28, s28, -1
	v_addc_co_u32_e32 v3, vcc, v3, v5, vcc
	s_addc_u32 s29, s29, -1
	v_mov_b32_e32 v5, s5
	v_add_co_u32_e32 v0, vcc, s4, v0
	s_cmp_lg_u64 s[28:29], 0
	v_addc_co_u32_e32 v1, vcc, v1, v5, vcc
	s_cbranch_scc0 .LBB13_15
.LBB13_13:                              ; =>This Inner Loop Header: Depth=1
	v_mov_b32_e32 v5, 0
	s_and_saveexec_b64 s[6:7], s[0:1]
	s_cbranch_execz .LBB13_12
; %bb.14:                               ;   in Loop: Header=BB13_13 Depth=1
	global_load_dword v5, v[2:3], off
	global_load_dword v6, v[0:1], off
	s_waitcnt vmcnt(1)
	v_mul_f32_e32 v7, 0x3fb8aa3b, v5
	s_waitcnt vmcnt(0)
	v_add_f32_e32 v6, v8, v6
	v_rndne_f32_e32 v10, v7
	v_fma_f32 v11, v5, s8, -v7
	v_sub_f32_e32 v6, v6, v5
	v_sub_f32_e32 v7, v7, v10
	v_fmac_f32_e32 v11, 0x32a5705f, v5
	v_mul_f32_e32 v12, 0x3fb8aa3b, v6
	v_add_f32_e32 v7, v7, v11
	v_fma_f32 v11, v6, s8, -v12
	v_rndne_f32_e32 v13, v12
	v_cvt_i32_f32_e32 v10, v10
	v_exp_f32_e32 v7, v7
	v_fmac_f32_e32 v11, 0x32a5705f, v6
	v_sub_f32_e32 v12, v12, v13
	v_add_f32_e32 v11, v12, v11
	v_cvt_i32_f32_e32 v13, v13
	v_exp_f32_e32 v11, v11
	v_ldexp_f32 v7, v7, v10
	v_cmp_ngt_f32_e32 vcc, s9, v5
	v_cndmask_b32_e32 v7, 0, v7, vcc
	v_cmp_nlt_f32_e32 vcc, s10, v5
	v_cndmask_b32_e32 v5, v4, v7, vcc
	v_ldexp_f32 v7, v11, v13
	v_cmp_ngt_f32_e32 vcc, s9, v6
	v_cndmask_b32_e32 v7, 0, v7, vcc
	v_cmp_nlt_f32_e32 vcc, s10, v6
	v_cndmask_b32_e32 v6, v4, v7, vcc
	v_sub_f32_e32 v5, v5, v6
	v_mul_f32_e32 v5, v9, v5
	s_branch .LBB13_12
.LBB13_15:
	s_endpgm
	.section	.rodata,"a",@progbits
	.p2align	6, 0x0
	.amdhsa_kernel _ZN2at6native12_GLOBAL__N_136ctc_loss_backward_collect_gpu_kernelIflEEvPT_PKS3_lS6_S6_S6_PKllPKT0_S8_lS6_llllllllllllS8_llllb
		.amdhsa_group_segment_fixed_size 0
		.amdhsa_private_segment_fixed_size 0
		.amdhsa_kernarg_size 496
		.amdhsa_user_sgpr_count 6
		.amdhsa_user_sgpr_private_segment_buffer 1
		.amdhsa_user_sgpr_dispatch_ptr 0
		.amdhsa_user_sgpr_queue_ptr 0
		.amdhsa_user_sgpr_kernarg_segment_ptr 1
		.amdhsa_user_sgpr_dispatch_id 0
		.amdhsa_user_sgpr_flat_scratch_init 0
		.amdhsa_user_sgpr_private_segment_size 0
		.amdhsa_uses_dynamic_stack 0
		.amdhsa_system_sgpr_private_segment_wavefront_offset 0
		.amdhsa_system_sgpr_workgroup_id_x 1
		.amdhsa_system_sgpr_workgroup_id_y 1
		.amdhsa_system_sgpr_workgroup_id_z 0
		.amdhsa_system_sgpr_workgroup_info 0
		.amdhsa_system_vgpr_workitem_id 1
		.amdhsa_next_free_vgpr 31
		.amdhsa_next_free_sgpr 52
		.amdhsa_reserve_vcc 1
		.amdhsa_reserve_flat_scratch 0
		.amdhsa_float_round_mode_32 0
		.amdhsa_float_round_mode_16_64 0
		.amdhsa_float_denorm_mode_32 3
		.amdhsa_float_denorm_mode_16_64 3
		.amdhsa_dx10_clamp 1
		.amdhsa_ieee_mode 1
		.amdhsa_fp16_overflow 0
		.amdhsa_exception_fp_ieee_invalid_op 0
		.amdhsa_exception_fp_denorm_src 0
		.amdhsa_exception_fp_ieee_div_zero 0
		.amdhsa_exception_fp_ieee_overflow 0
		.amdhsa_exception_fp_ieee_underflow 0
		.amdhsa_exception_fp_ieee_inexact 0
		.amdhsa_exception_int_div_zero 0
	.end_amdhsa_kernel
	.section	.text._ZN2at6native12_GLOBAL__N_136ctc_loss_backward_collect_gpu_kernelIflEEvPT_PKS3_lS6_S6_S6_PKllPKT0_S8_lS6_llllllllllllS8_llllb,"axG",@progbits,_ZN2at6native12_GLOBAL__N_136ctc_loss_backward_collect_gpu_kernelIflEEvPT_PKS3_lS6_S6_S6_PKllPKT0_S8_lS6_llllllllllllS8_llllb,comdat
.Lfunc_end13:
	.size	_ZN2at6native12_GLOBAL__N_136ctc_loss_backward_collect_gpu_kernelIflEEvPT_PKS3_lS6_S6_S6_PKllPKT0_S8_lS6_llllllllllllS8_llllb, .Lfunc_end13-_ZN2at6native12_GLOBAL__N_136ctc_loss_backward_collect_gpu_kernelIflEEvPT_PKS3_lS6_S6_S6_PKllPKT0_S8_lS6_llllllllllllS8_llllb
                                        ; -- End function
	.set _ZN2at6native12_GLOBAL__N_136ctc_loss_backward_collect_gpu_kernelIflEEvPT_PKS3_lS6_S6_S6_PKllPKT0_S8_lS6_llllllllllllS8_llllb.num_vgpr, 31
	.set _ZN2at6native12_GLOBAL__N_136ctc_loss_backward_collect_gpu_kernelIflEEvPT_PKS3_lS6_S6_S6_PKllPKT0_S8_lS6_llllllllllllS8_llllb.num_agpr, 0
	.set _ZN2at6native12_GLOBAL__N_136ctc_loss_backward_collect_gpu_kernelIflEEvPT_PKS3_lS6_S6_S6_PKllPKT0_S8_lS6_llllllllllllS8_llllb.numbered_sgpr, 52
	.set _ZN2at6native12_GLOBAL__N_136ctc_loss_backward_collect_gpu_kernelIflEEvPT_PKS3_lS6_S6_S6_PKllPKT0_S8_lS6_llllllllllllS8_llllb.num_named_barrier, 0
	.set _ZN2at6native12_GLOBAL__N_136ctc_loss_backward_collect_gpu_kernelIflEEvPT_PKS3_lS6_S6_S6_PKllPKT0_S8_lS6_llllllllllllS8_llllb.private_seg_size, 0
	.set _ZN2at6native12_GLOBAL__N_136ctc_loss_backward_collect_gpu_kernelIflEEvPT_PKS3_lS6_S6_S6_PKllPKT0_S8_lS6_llllllllllllS8_llllb.uses_vcc, 1
	.set _ZN2at6native12_GLOBAL__N_136ctc_loss_backward_collect_gpu_kernelIflEEvPT_PKS3_lS6_S6_S6_PKllPKT0_S8_lS6_llllllllllllS8_llllb.uses_flat_scratch, 0
	.set _ZN2at6native12_GLOBAL__N_136ctc_loss_backward_collect_gpu_kernelIflEEvPT_PKS3_lS6_S6_S6_PKllPKT0_S8_lS6_llllllllllllS8_llllb.has_dyn_sized_stack, 0
	.set _ZN2at6native12_GLOBAL__N_136ctc_loss_backward_collect_gpu_kernelIflEEvPT_PKS3_lS6_S6_S6_PKllPKT0_S8_lS6_llllllllllllS8_llllb.has_recursion, 0
	.set _ZN2at6native12_GLOBAL__N_136ctc_loss_backward_collect_gpu_kernelIflEEvPT_PKS3_lS6_S6_S6_PKllPKT0_S8_lS6_llllllllllllS8_llllb.has_indirect_call, 0
	.section	.AMDGPU.csdata,"",@progbits
; Kernel info:
; codeLenInByte = 1784
; TotalNumSgprs: 56
; NumVgprs: 31
; ScratchSize: 0
; MemoryBound: 0
; FloatMode: 240
; IeeeMode: 1
; LDSByteSize: 0 bytes/workgroup (compile time only)
; SGPRBlocks: 6
; VGPRBlocks: 7
; NumSGPRsForWavesPerEU: 56
; NumVGPRsForWavesPerEU: 31
; Occupancy: 8
; WaveLimiterHint : 1
; COMPUTE_PGM_RSRC2:SCRATCH_EN: 0
; COMPUTE_PGM_RSRC2:USER_SGPR: 6
; COMPUTE_PGM_RSRC2:TRAP_HANDLER: 0
; COMPUTE_PGM_RSRC2:TGID_X_EN: 1
; COMPUTE_PGM_RSRC2:TGID_Y_EN: 1
; COMPUTE_PGM_RSRC2:TGID_Z_EN: 0
; COMPUTE_PGM_RSRC2:TIDIG_COMP_CNT: 1
	.section	.text._ZN2at6native12_GLOBAL__N_130ctc_loss_zero_padded_gradientsIfEEvPT_PKlllllll,"axG",@progbits,_ZN2at6native12_GLOBAL__N_130ctc_loss_zero_padded_gradientsIfEEvPT_PKlllllll,comdat
	.globl	_ZN2at6native12_GLOBAL__N_130ctc_loss_zero_padded_gradientsIfEEvPT_PKlllllll ; -- Begin function _ZN2at6native12_GLOBAL__N_130ctc_loss_zero_padded_gradientsIfEEvPT_PKlllllll
	.p2align	8
	.type	_ZN2at6native12_GLOBAL__N_130ctc_loss_zero_padded_gradientsIfEEvPT_PKlllllll,@function
_ZN2at6native12_GLOBAL__N_130ctc_loss_zero_padded_gradientsIfEEvPT_PKlllllll: ; @_ZN2at6native12_GLOBAL__N_130ctc_loss_zero_padded_gradientsIfEEvPT_PKlllllll
; %bb.0:
	s_load_dword s16, s[4:5], 0x4c
	s_load_dwordx4 s[0:3], s[4:5], 0x30
	s_load_dwordx8 s[8:15], s[4:5], 0x10
	v_mov_b32_e32 v3, 0
	v_mov_b32_e32 v2, v1
	s_waitcnt lgkmcnt(0)
	s_lshr_b32 s18, s16, 16
	v_mov_b32_e32 v1, v3
	s_and_b32 s16, s16, 0xffff
	v_mov_b32_e32 v4, s6
	v_mad_u64_u32 v[0:1], s[16:17], s16, v4, v[0:1]
	s_mul_i32 s7, s7, s18
	v_add_u32_e32 v2, s7, v2
	v_cmp_gt_i64_e32 vcc, s[0:1], v[2:3]
	v_cmp_gt_i64_e64 s[0:1], s[14:15], v[0:1]
	s_and_b64 s[0:1], vcc, s[0:1]
	s_and_saveexec_b64 s[6:7], s[0:1]
	s_cbranch_execz .LBB14_4
; %bb.1:
	s_load_dwordx2 s[0:1], s[4:5], 0x8
	v_lshlrev_b64 v[3:4], 3, v[2:3]
	s_mov_b64 s[6:7], 0
	s_waitcnt lgkmcnt(0)
	v_mov_b32_e32 v5, s1
	v_add_co_u32_e32 v3, vcc, s0, v3
	v_addc_co_u32_e32 v4, vcc, v5, v4, vcc
	global_load_dwordx2 v[3:4], v[3:4], off
	v_ffbh_u32_e32 v5, v1
	v_min_u32_e32 v7, 32, v5
	v_lshlrev_b64 v[5:6], v7, v[0:1]
	v_cmp_gt_i64_e64 s[0:1], s[2:3], 0
	v_min_u32_e32 v5, 1, v5
	v_or_b32_e32 v5, v6, v5
	v_cvt_f32_u32_e32 v5, v5
	s_waitcnt vmcnt(0)
	v_xor_b32_e32 v6, v3, v4
	v_ffbh_i32_e32 v8, v4
	v_ashrrev_i32_e32 v6, 31, v6
	v_add_u32_e32 v8, -1, v8
	v_add_u32_e32 v6, 32, v6
	v_min_u32_e32 v6, v8, v6
	v_lshlrev_b64 v[3:4], v6, v[3:4]
	v_min_u32_e32 v3, 1, v3
	v_or_b32_e32 v3, v4, v3
	v_cvt_f32_i32_e32 v3, v3
	v_sub_u32_e32 v4, 32, v7
	v_ldexp_f32 v4, v5, v4
	v_sub_u32_e32 v5, 32, v6
	v_ldexp_f32 v3, v3, v5
	v_cmp_ge_f32_e32 vcc, v4, v3
	s_and_b64 s[0:1], vcc, s[0:1]
	s_and_b64 exec, exec, s[0:1]
	s_cbranch_execz .LBB14_4
; %bb.2:
	v_mad_u64_u32 v[3:4], s[0:1], s10, v2, 0
	v_mul_lo_u32 v6, v1, s8
	v_mul_lo_u32 v7, v0, s9
	v_mad_u64_u32 v[0:1], s[0:1], v0, s8, 0
	v_mad_u64_u32 v[4:5], s[0:1], s11, v2, v[4:5]
	s_load_dwordx2 s[0:1], s[4:5], 0x0
	v_add3_u32 v1, v1, v7, v6
	v_lshlrev_b64 v[0:1], 2, v[0:1]
	s_lshl_b64 s[4:5], s[12:13], 2
	s_waitcnt lgkmcnt(0)
	v_mov_b32_e32 v2, s1
	v_add_co_u32_e32 v5, vcc, s0, v0
	v_addc_co_u32_e32 v2, vcc, v2, v1, vcc
	v_lshlrev_b64 v[0:1], 2, v[3:4]
	v_mov_b32_e32 v3, s5
	v_add_co_u32_e32 v0, vcc, v5, v0
	v_addc_co_u32_e32 v1, vcc, v2, v1, vcc
	v_mov_b32_e32 v2, 0
.LBB14_3:                               ; =>This Inner Loop Header: Depth=1
	s_add_u32 s6, s6, 1
	s_addc_u32 s7, s7, 0
	v_mov_b32_e32 v4, s6
	v_mov_b32_e32 v5, s7
	global_store_dword v[0:1], v2, off
	v_add_co_u32_e32 v0, vcc, s4, v0
	v_cmp_gt_i64_e64 s[0:1], s[2:3], v[4:5]
	v_addc_co_u32_e32 v1, vcc, v1, v3, vcc
	s_and_b64 vcc, exec, s[0:1]
	s_cbranch_vccnz .LBB14_3
.LBB14_4:
	s_endpgm
	.section	.rodata,"a",@progbits
	.p2align	6, 0x0
	.amdhsa_kernel _ZN2at6native12_GLOBAL__N_130ctc_loss_zero_padded_gradientsIfEEvPT_PKlllllll
		.amdhsa_group_segment_fixed_size 0
		.amdhsa_private_segment_fixed_size 0
		.amdhsa_kernarg_size 320
		.amdhsa_user_sgpr_count 6
		.amdhsa_user_sgpr_private_segment_buffer 1
		.amdhsa_user_sgpr_dispatch_ptr 0
		.amdhsa_user_sgpr_queue_ptr 0
		.amdhsa_user_sgpr_kernarg_segment_ptr 1
		.amdhsa_user_sgpr_dispatch_id 0
		.amdhsa_user_sgpr_flat_scratch_init 0
		.amdhsa_user_sgpr_private_segment_size 0
		.amdhsa_uses_dynamic_stack 0
		.amdhsa_system_sgpr_private_segment_wavefront_offset 0
		.amdhsa_system_sgpr_workgroup_id_x 1
		.amdhsa_system_sgpr_workgroup_id_y 1
		.amdhsa_system_sgpr_workgroup_id_z 0
		.amdhsa_system_sgpr_workgroup_info 0
		.amdhsa_system_vgpr_workitem_id 1
		.amdhsa_next_free_vgpr 9
		.amdhsa_next_free_sgpr 19
		.amdhsa_reserve_vcc 1
		.amdhsa_reserve_flat_scratch 0
		.amdhsa_float_round_mode_32 0
		.amdhsa_float_round_mode_16_64 0
		.amdhsa_float_denorm_mode_32 3
		.amdhsa_float_denorm_mode_16_64 3
		.amdhsa_dx10_clamp 1
		.amdhsa_ieee_mode 1
		.amdhsa_fp16_overflow 0
		.amdhsa_exception_fp_ieee_invalid_op 0
		.amdhsa_exception_fp_denorm_src 0
		.amdhsa_exception_fp_ieee_div_zero 0
		.amdhsa_exception_fp_ieee_overflow 0
		.amdhsa_exception_fp_ieee_underflow 0
		.amdhsa_exception_fp_ieee_inexact 0
		.amdhsa_exception_int_div_zero 0
	.end_amdhsa_kernel
	.section	.text._ZN2at6native12_GLOBAL__N_130ctc_loss_zero_padded_gradientsIfEEvPT_PKlllllll,"axG",@progbits,_ZN2at6native12_GLOBAL__N_130ctc_loss_zero_padded_gradientsIfEEvPT_PKlllllll,comdat
.Lfunc_end14:
	.size	_ZN2at6native12_GLOBAL__N_130ctc_loss_zero_padded_gradientsIfEEvPT_PKlllllll, .Lfunc_end14-_ZN2at6native12_GLOBAL__N_130ctc_loss_zero_padded_gradientsIfEEvPT_PKlllllll
                                        ; -- End function
	.set _ZN2at6native12_GLOBAL__N_130ctc_loss_zero_padded_gradientsIfEEvPT_PKlllllll.num_vgpr, 9
	.set _ZN2at6native12_GLOBAL__N_130ctc_loss_zero_padded_gradientsIfEEvPT_PKlllllll.num_agpr, 0
	.set _ZN2at6native12_GLOBAL__N_130ctc_loss_zero_padded_gradientsIfEEvPT_PKlllllll.numbered_sgpr, 19
	.set _ZN2at6native12_GLOBAL__N_130ctc_loss_zero_padded_gradientsIfEEvPT_PKlllllll.num_named_barrier, 0
	.set _ZN2at6native12_GLOBAL__N_130ctc_loss_zero_padded_gradientsIfEEvPT_PKlllllll.private_seg_size, 0
	.set _ZN2at6native12_GLOBAL__N_130ctc_loss_zero_padded_gradientsIfEEvPT_PKlllllll.uses_vcc, 1
	.set _ZN2at6native12_GLOBAL__N_130ctc_loss_zero_padded_gradientsIfEEvPT_PKlllllll.uses_flat_scratch, 0
	.set _ZN2at6native12_GLOBAL__N_130ctc_loss_zero_padded_gradientsIfEEvPT_PKlllllll.has_dyn_sized_stack, 0
	.set _ZN2at6native12_GLOBAL__N_130ctc_loss_zero_padded_gradientsIfEEvPT_PKlllllll.has_recursion, 0
	.set _ZN2at6native12_GLOBAL__N_130ctc_loss_zero_padded_gradientsIfEEvPT_PKlllllll.has_indirect_call, 0
	.section	.AMDGPU.csdata,"",@progbits
; Kernel info:
; codeLenInByte = 424
; TotalNumSgprs: 23
; NumVgprs: 9
; ScratchSize: 0
; MemoryBound: 0
; FloatMode: 240
; IeeeMode: 1
; LDSByteSize: 0 bytes/workgroup (compile time only)
; SGPRBlocks: 2
; VGPRBlocks: 2
; NumSGPRsForWavesPerEU: 23
; NumVGPRsForWavesPerEU: 9
; Occupancy: 10
; WaveLimiterHint : 0
; COMPUTE_PGM_RSRC2:SCRATCH_EN: 0
; COMPUTE_PGM_RSRC2:USER_SGPR: 6
; COMPUTE_PGM_RSRC2:TRAP_HANDLER: 0
; COMPUTE_PGM_RSRC2:TGID_X_EN: 1
; COMPUTE_PGM_RSRC2:TGID_Y_EN: 1
; COMPUTE_PGM_RSRC2:TGID_Z_EN: 0
; COMPUTE_PGM_RSRC2:TIDIG_COMP_CNT: 1
	.section	.text._ZN2at6native12_GLOBAL__N_137ctc_loss_backward_log_beta_gpu_kernelIfiEEvPT_PKS3_PKllPKT0_S8_lllllllS8_lll,"axG",@progbits,_ZN2at6native12_GLOBAL__N_137ctc_loss_backward_log_beta_gpu_kernelIfiEEvPT_PKS3_PKllPKT0_S8_lllllllS8_lll,comdat
	.globl	_ZN2at6native12_GLOBAL__N_137ctc_loss_backward_log_beta_gpu_kernelIfiEEvPT_PKS3_PKllPKT0_S8_lllllllS8_lll ; -- Begin function _ZN2at6native12_GLOBAL__N_137ctc_loss_backward_log_beta_gpu_kernelIfiEEvPT_PKS3_PKllPKT0_S8_lllllllS8_lll
	.p2align	8
	.type	_ZN2at6native12_GLOBAL__N_137ctc_loss_backward_log_beta_gpu_kernelIfiEEvPT_PKS3_PKllPKT0_S8_lllllllS8_lll,@function
_ZN2at6native12_GLOBAL__N_137ctc_loss_backward_log_beta_gpu_kernelIfiEEvPT_PKS3_PKllPKT0_S8_lllllllS8_lll: ; @_ZN2at6native12_GLOBAL__N_137ctc_loss_backward_log_beta_gpu_kernelIfiEEvPT_PKS3_PKllPKT0_S8_lllllllS8_lll
; %bb.0:
	s_load_dword s2, s[4:5], 0x94
	s_load_dwordx4 s[24:27], s[4:5], 0x70
	s_add_u32 s0, s4, 0x88
	s_addc_u32 s1, s5, 0
	v_mov_b32_e32 v10, 0
	s_waitcnt lgkmcnt(0)
	s_lshr_b32 s2, s2, 16
	s_mul_i32 s7, s7, s2
	v_add_u32_e32 v9, s7, v1
	v_cmp_gt_i64_e32 vcc, s[26:27], v[9:10]
	s_and_saveexec_b64 s[2:3], vcc
	s_cbranch_execz .LBB15_43
; %bb.1:
	s_load_dwordx2 s[2:3], s[4:5], 0x10
	v_lshlrev_b64 v[3:4], 3, v[9:10]
	s_waitcnt lgkmcnt(0)
	v_mov_b32_e32 v2, s3
	v_add_co_u32_e32 v1, vcc, s2, v3
	v_addc_co_u32_e32 v2, vcc, v2, v4, vcc
	global_load_dwordx2 v[1:2], v[1:2], off
	s_waitcnt vmcnt(0)
	v_cmp_ne_u64_e32 vcc, 0, v[1:2]
	s_and_b64 exec, exec, vcc
	s_cbranch_execz .LBB15_43
; %bb.2:
	s_load_dwordx2 s[2:3], s[4:5], 0x28
	s_load_dwordx2 s[6:7], s[4:5], 0x68
	s_waitcnt lgkmcnt(0)
	v_mov_b32_e32 v6, s3
	v_add_co_u32_e32 v5, vcc, s2, v3
	v_addc_co_u32_e32 v6, vcc, v6, v4, vcc
	global_load_dwordx2 v[11:12], v[5:6], off
	v_mov_b32_e32 v5, s7
	v_add_co_u32_e32 v3, vcc, s6, v3
	v_addc_co_u32_e32 v4, vcc, v5, v4, vcc
	global_load_dwordx2 v[3:4], v[3:4], off
	s_load_dwordx8 s[8:15], s[4:5], 0x30
	s_load_dword s2, s[0:1], 0xc
	s_mov_b32 s0, 0
	s_waitcnt lgkmcnt(0)
	s_lshl_b64 s[26:27], s[8:9], 1
	s_and_b32 s33, s2, 0xffff
	s_mov_b32 s1, s27
	s_cmp_lg_u64 s[0:1], 0
	s_cbranch_scc0 .LBB15_44
; %bb.3:
	s_add_u32 s0, s33, 0
	s_addc_u32 s1, 0, 0
	s_xor_b64 s[2:3], s[0:1], 0
	v_cvt_f32_u32_e32 v5, s2
	v_cvt_f32_u32_e32 v6, s3
	s_sub_u32 s8, 0, s2
	s_subb_u32 s9, 0, s3
	v_madmk_f32 v5, v6, 0x4f800000, v5
	v_rcp_f32_e32 v5, v5
	v_mul_f32_e32 v5, 0x5f7ffffc, v5
	v_mul_f32_e32 v6, 0x2f800000, v5
	v_trunc_f32_e32 v6, v6
	v_madmk_f32 v5, v6, 0xcf800000, v5
	v_cvt_u32_f32_e32 v6, v6
	v_cvt_u32_f32_e32 v5, v5
	v_readfirstlane_b32 s16, v6
	v_readfirstlane_b32 s6, v5
	s_mul_i32 s7, s8, s16
	s_mul_hi_u32 s18, s8, s6
	s_mul_i32 s17, s9, s6
	s_add_i32 s7, s18, s7
	s_add_i32 s7, s7, s17
	s_mul_i32 s19, s8, s6
	s_mul_i32 s18, s6, s7
	s_mul_hi_u32 s20, s6, s19
	s_mul_hi_u32 s17, s6, s7
	s_add_u32 s18, s20, s18
	s_addc_u32 s17, 0, s17
	s_mul_hi_u32 s21, s16, s19
	s_mul_i32 s19, s16, s19
	s_add_u32 s18, s18, s19
	s_mul_hi_u32 s20, s16, s7
	s_addc_u32 s17, s17, s21
	s_addc_u32 s18, s20, 0
	s_mul_i32 s7, s16, s7
	s_add_u32 s7, s17, s7
	s_addc_u32 s17, 0, s18
	s_add_u32 s18, s6, s7
	s_cselect_b64 s[6:7], -1, 0
	s_cmp_lg_u64 s[6:7], 0
	s_addc_u32 s16, s16, s17
	s_mul_i32 s6, s8, s16
	s_mul_hi_u32 s7, s8, s18
	s_add_i32 s6, s7, s6
	s_mul_i32 s9, s9, s18
	s_add_i32 s6, s6, s9
	s_mul_i32 s8, s8, s18
	s_mul_hi_u32 s9, s16, s8
	s_mul_i32 s17, s16, s8
	s_mul_i32 s20, s18, s6
	s_mul_hi_u32 s8, s18, s8
	s_mul_hi_u32 s19, s18, s6
	s_add_u32 s8, s8, s20
	s_addc_u32 s19, 0, s19
	s_add_u32 s8, s8, s17
	s_mul_hi_u32 s7, s16, s6
	s_addc_u32 s8, s19, s9
	s_addc_u32 s7, s7, 0
	s_mul_i32 s6, s16, s6
	s_add_u32 s6, s8, s6
	s_addc_u32 s8, 0, s7
	s_add_u32 s17, s18, s6
	s_cselect_b64 s[6:7], -1, 0
	s_cmp_lg_u64 s[6:7], 0
	s_addc_u32 s16, s16, s8
	s_ashr_i32 s6, s27, 31
	s_add_u32 s8, s26, s6
	s_mov_b32 s7, s6
	s_addc_u32 s9, s27, s6
	s_xor_b64 s[8:9], s[8:9], s[6:7]
	s_mul_i32 s19, s8, s16
	s_mul_hi_u32 s20, s8, s17
	s_mul_hi_u32 s18, s8, s16
	s_add_u32 s19, s20, s19
	s_addc_u32 s18, 0, s18
	s_mul_hi_u32 s21, s9, s17
	s_mul_i32 s17, s9, s17
	s_add_u32 s17, s19, s17
	s_mul_hi_u32 s20, s9, s16
	s_addc_u32 s17, s18, s21
	s_addc_u32 s18, s20, 0
	s_mul_i32 s16, s9, s16
	s_add_u32 s16, s17, s16
	s_addc_u32 s17, 0, s18
	s_mul_i32 s17, s2, s17
	s_mul_hi_u32 s18, s2, s16
	s_add_i32 s17, s18, s17
	s_mul_i32 s18, s3, s16
	s_add_i32 s20, s17, s18
	s_sub_i32 s18, s9, s20
	s_mul_i32 s16, s2, s16
	s_sub_u32 s8, s8, s16
	s_cselect_b64 s[16:17], -1, 0
	s_cmp_lg_u64 s[16:17], 0
	s_subb_u32 s21, s18, s3
	s_sub_u32 s22, s8, s2
	s_cselect_b64 s[18:19], -1, 0
	s_cmp_lg_u64 s[18:19], 0
	s_subb_u32 s23, s21, 0
	s_cmp_ge_u32 s23, s3
	s_cselect_b32 s28, -1, 0
	s_cmp_ge_u32 s22, s2
	s_cselect_b32 s29, -1, 0
	s_cmp_eq_u32 s23, s3
	s_cselect_b32 s28, s29, s28
	s_cmp_lg_u64 s[18:19], 0
	s_subb_u32 s21, s21, s3
	s_sub_u32 s29, s22, s2
	s_cselect_b64 s[18:19], -1, 0
	s_cmp_lg_u64 s[18:19], 0
	s_subb_u32 s18, s21, 0
	s_cmp_lg_u32 s28, 0
	s_cselect_b32 s19, s29, s22
	s_cselect_b32 s18, s18, s23
	s_cmp_lg_u64 s[16:17], 0
	s_subb_u32 s9, s9, s20
	s_cmp_ge_u32 s9, s3
	s_cselect_b32 s16, -1, 0
	s_cmp_ge_u32 s8, s2
	s_cselect_b32 s2, -1, 0
	s_cmp_eq_u32 s9, s3
	s_cselect_b32 s2, s2, s16
	s_cmp_lg_u32 s2, 0
	s_cselect_b32 s3, s18, s9
	s_cselect_b32 s2, s19, s8
	s_xor_b64 s[2:3], s[2:3], s[6:7]
	s_sub_u32 s8, s2, s6
	s_subb_u32 s9, s3, s6
	s_cbranch_execnz .LBB15_5
.LBB15_4:
	v_cvt_f32_u32_e32 v5, s33
	s_sub_i32 s0, 0, s33
	s_mov_b32 s9, 0
	v_rcp_iflag_f32_e32 v5, v5
	v_mul_f32_e32 v5, 0x4f7ffffe, v5
	v_cvt_u32_f32_e32 v5, v5
	v_readfirstlane_b32 s1, v5
	s_mul_i32 s0, s0, s1
	s_mul_hi_u32 s0, s1, s0
	s_add_i32 s1, s1, s0
	s_mul_hi_u32 s0, s26, s1
	s_mul_i32 s0, s0, s33
	s_sub_i32 s0, s26, s0
	s_sub_i32 s1, s0, s33
	s_cmp_ge_u32 s0, s33
	s_cselect_b32 s0, s1, s0
	s_sub_i32 s1, s0, s33
	s_cmp_ge_u32 s0, s33
	s_cselect_b32 s8, s1, s0
.LBB15_5:
	s_sub_u32 s34, s26, s8
	s_subb_u32 s35, s27, s9
	v_cmp_lt_i64_e64 s[0:1], s[34:35], 0
	s_and_b64 vcc, exec, s[0:1]
	s_cbranch_vccnz .LBB15_43
; %bb.6:
	v_mad_u64_u32 v[7:8], s[0:1], s12, v9, 0
	s_load_dwordx2 s[0:1], s[4:5], 0x20
	s_load_dwordx4 s[28:31], s[4:5], 0x0
	v_mov_b32_e32 v5, v8
	v_mad_u64_u32 v[5:6], s[2:3], s13, v9, v[5:6]
	s_waitcnt vmcnt(0)
	v_lshlrev_b64 v[13:14], 2, v[3:4]
	v_add_co_u32_e32 v3, vcc, -1, v1
	v_addc_co_u32_e32 v4, vcc, -1, v2, vcc
	v_mul_lo_u32 v10, v4, s10
	v_mul_lo_u32 v17, v3, s11
	v_mad_u64_u32 v[15:16], s[2:3], v3, s10, 0
	v_mov_b32_e32 v8, v5
	s_waitcnt lgkmcnt(0)
	v_mov_b32_e32 v6, s1
	v_add_co_u32_e32 v31, vcc, s0, v13
	v_lshlrev_b64 v[19:20], 2, v[7:8]
	v_addc_co_u32_e32 v32, vcc, v6, v14, vcc
	v_lshlrev_b64 v[5:6], 1, v[11:12]
	v_add3_u32 v16, v16, v17, v10
	v_mov_b32_e32 v7, s31
	v_add_co_u32_e32 v10, vcc, s30, v19
	v_addc_co_u32_e32 v17, vcc, v7, v20, vcc
	v_add_co_u32_e32 v7, vcc, -1, v5
	v_addc_co_u32_e32 v8, vcc, -1, v6, vcc
	v_lshlrev_b64 v[13:14], 2, v[15:16]
	v_lshrrev_b32_e32 v15, 1, v8
	v_mul_lo_u32 v18, v15, s24
	v_alignbit_b32 v15, v8, v7, 1
	s_load_dwordx8 s[16:23], s[4:5], 0x50
	v_mul_lo_u32 v21, v15, s25
	v_mad_u64_u32 v[15:16], s[0:1], v15, s24, 0
	v_add_co_u32_e32 v30, vcc, v10, v13
	v_add3_u32 v16, v16, v21, v18
	s_waitcnt lgkmcnt(0)
	v_mad_u64_u32 v[21:22], s[0:1], s16, v9, 0
	v_addc_co_u32_e32 v33, vcc, v17, v14, vcc
	v_lshlrev_b64 v[13:14], 2, v[15:16]
	v_mov_b32_e32 v10, s27
	v_add_co_u32_e32 v15, vcc, s26, v0
	v_addc_co_u32_e32 v29, vcc, 0, v10, vcc
	v_mov_b32_e32 v10, s9
	v_subrev_co_u32_e64 v15, s[6:7], s8, v15
	v_subb_co_u32_e64 v16, vcc, v29, v10, s[6:7]
	v_mov_b32_e32 v10, v22
	v_mad_u64_u32 v[9:10], s[0:1], s17, v9, v[10:11]
	v_mul_lo_u32 v25, s21, v15
	v_mul_lo_u32 v26, s20, v16
	v_mad_u64_u32 v[17:18], s[0:1], s20, v15, 0
	v_mul_lo_u32 v10, s19, v3
	v_mul_lo_u32 v22, s18, v4
	v_mad_u64_u32 v[23:24], s[0:1], s18, v3, 0
	v_add3_u32 v18, v18, v26, v25
	v_add_co_u32_e32 v13, vcc, v31, v13
	v_add3_u32 v24, v24, v22, v10
	v_mov_b32_e32 v22, v9
	v_lshlrev_b64 v[17:18], 2, v[17:18]
	v_lshlrev_b64 v[9:10], 2, v[23:24]
	s_load_dwordx2 s[22:23], s[4:5], 0x80
	v_addc_co_u32_e32 v14, vcc, v32, v14, vcc
	v_add_co_u32_e32 v23, vcc, v17, v9
	v_addc_co_u32_e32 v24, vcc, v18, v10, vcc
	v_lshlrev_b64 v[9:10], 2, v[21:22]
	s_waitcnt lgkmcnt(0)
	s_mul_i32 s0, s22, s15
	v_add_co_u32_e32 v21, vcc, v23, v9
	s_mul_hi_u32 s1, s22, s14
	v_addc_co_u32_e32 v22, vcc, v24, v10, vcc
	s_add_i32 s0, s1, s0
	s_mul_i32 s1, s23, s14
	v_mov_b32_e32 v23, s29
	v_add_co_u32_e32 v21, vcc, s28, v21
	s_add_i32 s1, s0, s1
	s_mul_i32 s0, s22, s14
	v_addc_co_u32_e32 v22, vcc, v23, v22, vcc
	s_lshl_b64 s[0:1], s[0:1], 2
	v_mov_b32_e32 v24, s1
	v_add_co_u32_e32 v23, vcc, s0, v30
	v_addc_co_u32_e32 v24, vcc, v33, v24, vcc
	s_mul_i32 s0, s21, s33
	s_mul_hi_u32 s1, s20, s33
	s_add_i32 s1, s1, s0
	s_mul_i32 s0, s20, s33
	v_sub_co_u32_e32 v25, vcc, v5, v0
	s_lshl_b64 s[0:1], s[0:1], 2
	v_subbrev_co_u32_e32 v26, vcc, 0, v6, vcc
	s_sub_u32 s46, 0, s0
	v_add_co_u32_e32 v27, vcc, -1, v25
	s_subb_u32 s47, 0, s1
	v_addc_co_u32_e32 v28, vcc, -1, v26, vcc
	s_mov_b64 s[0:1], s[34:35]
	s_branch .LBB15_8
.LBB15_7:                               ;   in Loop: Header=BB15_8 Depth=1
	s_or_b64 exec, exec, s[2:3]
	s_sub_u32 s0, s0, s33
	s_subb_u32 s1, s1, 0
	s_waitcnt vmcnt(0)
	v_mov_b32_e32 v34, s47
	v_cmp_lt_i64_e64 s[2:3], s[0:1], 0
	v_add_co_u32_e32 v21, vcc, s46, v21
	v_addc_co_u32_e32 v22, vcc, v22, v34, vcc
	s_and_b64 vcc, exec, s[2:3]
	s_cbranch_vccnz .LBB15_16
.LBB15_8:                               ; =>This Inner Loop Header: Depth=1
	v_cmp_ne_u64_e32 vcc, s[0:1], v[25:26]
                                        ; implicit-def: $vgpr34
	s_and_saveexec_b64 s[2:3], vcc
	s_xor_b64 s[2:3], exec, s[2:3]
	s_cbranch_execz .LBB15_12
; %bb.9:                                ;   in Loop: Header=BB15_8 Depth=1
	v_cmp_eq_u64_e32 vcc, s[0:1], v[27:28]
	v_mov_b32_e32 v34, 0xff800000
	s_and_saveexec_b64 s[12:13], vcc
	s_cbranch_execz .LBB15_11
; %bb.10:                               ;   in Loop: Header=BB15_8 Depth=1
	global_load_dword v34, v[13:14], off
	s_waitcnt vmcnt(0)
	v_ashrrev_i32_e32 v36, 31, v34
	v_mul_lo_u32 v37, s15, v34
	v_mad_u64_u32 v[34:35], s[16:17], s14, v34, 0
	v_mul_lo_u32 v36, s14, v36
	v_add3_u32 v35, v35, v36, v37
	v_lshlrev_b64 v[34:35], 2, v[34:35]
	v_add_co_u32_e32 v34, vcc, v30, v34
	v_addc_co_u32_e32 v35, vcc, v33, v35, vcc
	global_load_dword v34, v[34:35], off
.LBB15_11:                              ;   in Loop: Header=BB15_8 Depth=1
	s_or_b64 exec, exec, s[12:13]
.LBB15_12:                              ;   in Loop: Header=BB15_8 Depth=1
	s_andn2_saveexec_b64 s[2:3], s[2:3]
	s_cbranch_execz .LBB15_14
; %bb.13:                               ;   in Loop: Header=BB15_8 Depth=1
	global_load_dword v34, v[23:24], off
.LBB15_14:                              ;   in Loop: Header=BB15_8 Depth=1
	s_or_b64 exec, exec, s[2:3]
	v_mov_b32_e32 v36, s1
	v_add_co_u32_e32 v35, vcc, s0, v0
	v_addc_co_u32_e32 v36, vcc, 0, v36, vcc
	v_cmp_ge_i64_e32 vcc, s[26:27], v[35:36]
	s_and_saveexec_b64 s[2:3], vcc
	s_cbranch_execz .LBB15_7
; %bb.15:                               ;   in Loop: Header=BB15_8 Depth=1
	s_waitcnt vmcnt(0)
	global_store_dword v[21:22], v34, off
	s_branch .LBB15_7
.LBB15_16:
	s_load_dwordx2 s[4:5], s[4:5], 0x18
	v_cmp_lt_i64_e64 s[0:1], 0, v[11:12]
	v_cmp_ne_u64_e64 s[2:3], 0, v[11:12]
	v_lshlrev_b64 v[11:12], 2, v[15:16]
	s_mov_b32 s52, 0xff800000
	s_waitcnt lgkmcnt(0)
	s_add_u32 s36, s4, -2
	s_addc_u32 s37, s5, -1
	s_mul_hi_u32 s8, s18, s36
	s_mul_i32 s12, s18, s37
	s_add_i32 s8, s8, s12
	s_mul_i32 s12, s19, s36
	s_add_i32 s13, s8, s12
	s_mul_i32 s12, s18, s36
	s_lshl_b64 s[12:13], s[12:13], 2
	s_add_u32 s8, s28, s12
	s_addc_u32 s12, s29, s13
	v_mov_b32_e32 v14, s12
	s_lshl_b64 s[12:13], s[18:19], 2
	s_sub_u32 s48, 0, s12
	s_subb_u32 s49, 0, s13
	v_cmp_gt_i64_e64 s[38:39], s[4:5], 1
	s_add_u32 s4, s4, -1
	s_addc_u32 s5, s5, -1
	s_mul_i32 s5, s18, s5
	s_mul_hi_u32 s12, s18, s4
	s_add_i32 s5, s12, s5
	s_mul_i32 s12, s19, s4
	s_add_i32 s5, s5, s12
	s_mul_i32 s4, s18, s4
	s_lshl_b64 s[4:5], s[4:5], 2
	s_add_u32 s4, s28, s4
	v_add_co_u32_e32 v13, vcc, 4, v11
	s_addc_u32 s5, s29, s5
	v_addc_co_u32_e32 v16, vcc, 0, v12, vcc
	v_mov_b32_e32 v12, s5
	v_mov_b32_e32 v11, s4
	v_mad_u64_u32 v[11:12], s[12:13], s20, v13, v[11:12]
	v_mul_lo_u32 v16, s20, v16
	v_mul_lo_u32 v21, s21, v13
	v_add_co_u32_e32 v13, vcc, s8, v17
	v_addc_co_u32_e32 v14, vcc, v14, v18, vcc
	v_add3_u32 v12, v21, v12, v16
	v_mov_b32_e32 v21, s9
	v_subb_co_u32_e64 v21, vcc, v29, v21, s[6:7]
	v_add_co_u32_e32 v15, vcc, 2, v15
	v_addc_co_u32_e32 v21, vcc, 0, v21, vcc
	v_mul_lo_u32 v23, s21, v15
	v_mul_lo_u32 v24, s20, v21
	v_mad_u64_u32 v[21:22], s[6:7], s20, v15, 0
	v_mov_b32_e32 v16, s5
	v_add_co_u32_e32 v15, vcc, s4, v17
	v_add3_u32 v22, v22, v24, v23
	v_addc_co_u32_e32 v16, vcc, v16, v18, vcc
	v_lshlrev_b64 v[17:18], 2, v[21:22]
	v_mov_b32_e32 v21, s5
	v_add_co_u32_e32 v17, vcc, s4, v17
	s_mul_i32 s4, s10, s37
	s_mul_hi_u32 s5, s10, s36
	s_add_i32 s4, s5, s4
	s_mul_i32 s5, s11, s36
	s_add_i32 s5, s4, s5
	s_mul_i32 s4, s10, s36
	s_lshl_b64 s[4:5], s[4:5], 2
	s_add_u32 s4, s30, s4
	v_addc_co_u32_e32 v18, vcc, v21, v18, vcc
	s_addc_u32 s5, s31, s5
	v_mov_b32_e32 v21, s5
	v_add_co_u32_e32 v19, vcc, s4, v19
	s_lshl_b64 s[18:19], s[14:15], 2
	s_lshl_b64 s[4:5], s[10:11], 2
	s_sub_u32 s50, 0, s4
	v_addc_co_u32_e32 v20, vcc, v21, v20, vcc
	s_subb_u32 s51, 0, s5
	s_mov_b32 s53, 0x3fb8aa3b
	s_mov_b32 s54, 0xc2ce8ed0
	;; [unrolled: 1-line block ×6, first 2 shown]
	v_mov_b32_e32 v33, 0x7f800000
	s_branch .LBB15_18
.LBB15_17:                              ;   in Loop: Header=BB15_18 Depth=1
	v_mov_b32_e32 v21, s47
	v_add_co_u32_e32 v13, vcc, s46, v13
	v_addc_co_u32_e32 v14, vcc, v14, v21, vcc
	v_add_co_u32_e32 v11, vcc, s46, v11
	v_addc_co_u32_e32 v12, vcc, v12, v21, vcc
	s_sub_u32 s34, s34, s33
	v_add_co_u32_e32 v15, vcc, s46, v15
	s_subb_u32 s35, s35, 0
	v_addc_co_u32_e32 v16, vcc, v16, v21, vcc
	v_cmp_lt_i64_e64 s[4:5], s[34:35], 0
	v_add_co_u32_e32 v17, vcc, s46, v17
	v_addc_co_u32_e32 v18, vcc, v18, v21, vcc
	s_and_b64 vcc, exec, s[4:5]
	s_cbranch_vccnz .LBB15_43
.LBB15_18:                              ; =>This Loop Header: Depth=1
                                        ;     Child Loop BB15_29 Depth 2
	v_mov_b32_e32 v21, s35
	v_add_co_u32_e32 v23, vcc, s34, v0
	v_addc_co_u32_e32 v24, vcc, 0, v21, vcc
	v_cmp_le_i64_e64 s[6:7], v[23:24], v[5:6]
	v_mov_b32_e32 v26, s23
	s_and_b64 s[4:5], s[0:1], s[6:7]
	v_mov_b32_e32 v25, s22
	s_mov_b64 s[20:21], 0
	s_and_saveexec_b64 s[8:9], s[4:5]
	s_cbranch_execz .LBB15_26
; %bb.19:                               ;   in Loop: Header=BB15_18 Depth=1
	v_and_b32_e32 v21, 1, v23
	v_mov_b32_e32 v26, s23
	v_cmp_eq_u32_e32 vcc, 1, v21
	v_mov_b32_e32 v25, s22
	s_and_saveexec_b64 s[10:11], vcc
	s_cbranch_execz .LBB15_21
; %bb.20:                               ;   in Loop: Header=BB15_18 Depth=1
	v_alignbit_b32 v21, v24, v23, 1
	v_lshrrev_b32_e32 v26, 1, v24
	v_mul_lo_u32 v25, v21, s25
	v_mad_u64_u32 v[21:22], s[4:5], v21, s24, 0
	v_mul_lo_u32 v26, v26, s24
	v_add3_u32 v22, v22, v25, v26
	v_lshlrev_b64 v[21:22], 2, v[21:22]
	v_add_co_u32_e64 v21, s[4:5], v31, v21
	v_addc_co_u32_e64 v22, s[4:5], v32, v22, s[4:5]
	global_load_dword v25, v[21:22], off
	s_waitcnt vmcnt(0)
	v_ashrrev_i32_e32 v26, 31, v25
.LBB15_21:                              ;   in Loop: Header=BB15_18 Depth=1
	s_or_b64 exec, exec, s[10:11]
	v_cmp_lt_i64_e64 s[4:5], v[23:24], v[7:8]
	s_mov_b64 s[12:13], 0
	s_and_saveexec_b64 s[10:11], s[4:5]
	s_cbranch_execz .LBB15_25
; %bb.22:                               ;   in Loop: Header=BB15_18 Depth=1
	v_mov_b32_e32 v21, s22
	v_mov_b32_e32 v22, s23
	s_and_saveexec_b64 s[4:5], vcc
	s_cbranch_execz .LBB15_24
; %bb.23:                               ;   in Loop: Header=BB15_18 Depth=1
	v_add_co_u32_e32 v21, vcc, 2, v23
	v_addc_co_u32_e32 v27, vcc, 0, v24, vcc
	v_alignbit_b32 v21, v27, v21, 1
	v_lshrrev_b32_e32 v27, 1, v27
	v_mul_lo_u32 v28, v21, s25
	v_mad_u64_u32 v[21:22], s[12:13], v21, s24, 0
	v_mul_lo_u32 v27, v27, s24
	v_add3_u32 v22, v22, v28, v27
	v_lshlrev_b64 v[21:22], 2, v[21:22]
	v_add_co_u32_e32 v21, vcc, v31, v21
	v_addc_co_u32_e32 v22, vcc, v32, v22, vcc
	global_load_dword v21, v[21:22], off
	s_waitcnt vmcnt(0)
	v_ashrrev_i32_e32 v22, 31, v21
.LBB15_24:                              ;   in Loop: Header=BB15_18 Depth=1
	s_or_b64 exec, exec, s[4:5]
	v_cmp_ne_u64_e32 vcc, v[21:22], v[25:26]
	s_and_b64 s[12:13], vcc, exec
.LBB15_25:                              ;   in Loop: Header=BB15_18 Depth=1
	s_or_b64 exec, exec, s[10:11]
	s_and_b64 s[20:21], s[12:13], exec
.LBB15_26:                              ;   in Loop: Header=BB15_18 Depth=1
	s_or_b64 exec, exec, s[8:9]
	s_andn2_b64 vcc, exec, s[38:39]
	s_cbranch_vccnz .LBB15_17
; %bb.27:                               ;   in Loop: Header=BB15_18 Depth=1
	v_mad_u64_u32 v[21:22], s[8:9], s18, v25, v[19:20]
	v_mul_lo_u32 v26, s18, v26
	v_mul_lo_u32 v25, s19, v25
	v_cmp_gt_i64_e64 s[4:5], 1, v[23:24]
	v_cmp_lt_i64_e32 vcc, s[26:27], v[23:24]
	s_or_b64 s[8:9], s[2:3], s[4:5]
	v_cmp_lt_i64_e64 s[4:5], v[23:24], v[5:6]
	v_add3_u32 v22, v25, v22, v26
	v_mov_b32_e32 v24, v18
	v_mov_b32_e32 v26, v16
	v_mov_b32_e32 v28, v12
	v_mov_b32_e32 v30, v14
	s_and_b64 s[28:29], s[8:9], s[6:7]
	s_xor_b64 s[30:31], s[6:7], -1
	v_mov_b32_e32 v23, v17
	v_mov_b32_e32 v25, v15
	;; [unrolled: 1-line block ×4, first 2 shown]
	s_mov_b64 s[40:41], s[36:37]
	s_branch .LBB15_29
.LBB15_28:                              ;   in Loop: Header=BB15_29 Depth=2
	s_or_b64 exec, exec, s[8:9]
	v_mov_b32_e32 v34, s49
	v_add_co_u32_e64 v29, s[6:7], s48, v29
	v_addc_co_u32_e64 v30, s[6:7], v30, v34, s[6:7]
	v_add_co_u32_e64 v27, s[6:7], s48, v27
	v_addc_co_u32_e64 v28, s[6:7], v28, v34, s[6:7]
	;; [unrolled: 2-line block ×3, first 2 shown]
	v_add_co_u32_e64 v23, s[6:7], s48, v23
	s_add_u32 s40, s40, -1
	v_addc_co_u32_e64 v24, s[6:7], v24, v34, s[6:7]
	s_addc_u32 s41, s41, -1
	v_mov_b32_e32 v34, s51
	v_add_co_u32_e64 v21, s[6:7], s50, v21
	s_cmp_eq_u64 s[40:41], -1
	v_addc_co_u32_e64 v22, s[6:7], v22, v34, s[6:7]
	s_cbranch_scc1 .LBB15_17
.LBB15_29:                              ;   Parent Loop BB15_18 Depth=1
                                        ; =>  This Inner Loop Header: Depth=2
	v_cmp_ge_i64_e64 s[6:7], s[40:41], v[3:4]
	s_mov_b64 s[42:43], 0
	s_or_b64 s[6:7], s[30:31], s[6:7]
	s_waitcnt vmcnt(0)
	s_barrier
	s_and_saveexec_b64 s[8:9], s[6:7]
	s_xor_b64 s[8:9], exec, s[8:9]
	s_cbranch_execnz .LBB15_32
; %bb.30:                               ;   in Loop: Header=BB15_29 Depth=2
	s_or_saveexec_b64 s[44:45], s[8:9]
	v_mov_b32_e32 v34, 0xff800000
	s_xor_b64 exec, exec, s[44:45]
	s_cbranch_execnz .LBB15_33
.LBB15_31:                              ;   in Loop: Header=BB15_29 Depth=2
	s_or_b64 exec, exec, s[44:45]
	s_and_saveexec_b64 s[8:9], s[42:43]
	s_cbranch_execz .LBB15_28
	s_branch .LBB15_42
.LBB15_32:                              ;   in Loop: Header=BB15_29 Depth=2
	v_cmp_lt_i64_e64 s[6:7], s[40:41], v[1:2]
	s_and_b64 s[6:7], s[6:7], s[28:29]
	s_nor_b64 s[6:7], vcc, s[6:7]
	s_and_b64 s[42:43], s[6:7], exec
	s_or_saveexec_b64 s[44:45], s[8:9]
	v_mov_b32_e32 v34, 0xff800000
	s_xor_b64 exec, exec, s[44:45]
	s_cbranch_execz .LBB15_31
.LBB15_33:                              ;   in Loop: Header=BB15_29 Depth=2
	v_add_co_u32_e64 v34, s[6:7], v25, v9
	v_addc_co_u32_e64 v35, s[6:7], v26, v10, s[6:7]
	global_load_dword v34, v[34:35], off
	v_mov_b32_e32 v35, 0xff800000
	v_mov_b32_e32 v36, 0xff800000
	s_waitcnt vmcnt(0)
	v_mov_b32_e32 v37, v34
	s_and_saveexec_b64 s[8:9], s[4:5]
	s_cbranch_execz .LBB15_37
; %bb.34:                               ;   in Loop: Header=BB15_29 Depth=2
	v_add_co_u32_e64 v36, s[6:7], v27, v9
	v_addc_co_u32_e64 v37, s[6:7], v28, v10, s[6:7]
	global_load_dword v36, v[36:37], off
	v_mov_b32_e32 v37, v34
	s_waitcnt vmcnt(0)
	v_cmp_gt_f32_e64 s[6:7], v36, v34
	s_and_saveexec_b64 s[10:11], s[6:7]
; %bb.35:                               ;   in Loop: Header=BB15_29 Depth=2
	v_mov_b32_e32 v37, v36
; %bb.36:                               ;   in Loop: Header=BB15_29 Depth=2
	s_or_b64 exec, exec, s[10:11]
.LBB15_37:                              ;   in Loop: Header=BB15_29 Depth=2
	s_or_b64 exec, exec, s[8:9]
	s_and_saveexec_b64 s[8:9], s[20:21]
	s_cbranch_execz .LBB15_41
; %bb.38:                               ;   in Loop: Header=BB15_29 Depth=2
	v_add_co_u32_e64 v38, s[6:7], v23, v9
	v_addc_co_u32_e64 v39, s[6:7], v24, v10, s[6:7]
	global_load_dword v35, v[38:39], off
	s_waitcnt vmcnt(0)
	v_cmp_gt_f32_e64 s[6:7], v35, v37
	s_and_saveexec_b64 s[10:11], s[6:7]
; %bb.39:                               ;   in Loop: Header=BB15_29 Depth=2
	v_mov_b32_e32 v37, v35
; %bb.40:                               ;   in Loop: Header=BB15_29 Depth=2
	s_or_b64 exec, exec, s[10:11]
.LBB15_41:                              ;   in Loop: Header=BB15_29 Depth=2
	s_or_b64 exec, exec, s[8:9]
	global_load_dword v38, v[21:22], off
	v_cmp_neq_f32_e64 s[6:7], s52, v37
	v_cndmask_b32_e64 v37, 0, v37, s[6:7]
	v_sub_f32_e32 v34, v34, v37
	v_sub_f32_e32 v36, v36, v37
	;; [unrolled: 1-line block ×3, first 2 shown]
	v_mul_f32_e32 v39, 0x3fb8aa3b, v34
	v_mul_f32_e32 v40, 0x3fb8aa3b, v36
	;; [unrolled: 1-line block ×3, first 2 shown]
	v_fma_f32 v42, v34, s53, -v39
	v_rndne_f32_e32 v43, v39
	v_fma_f32 v44, v36, s53, -v40
	v_rndne_f32_e32 v45, v40
	v_cmp_ngt_f32_e64 s[6:7], s54, v34
	v_cmp_ngt_f32_e64 s[8:9], s54, v36
	v_cmp_nlt_f32_e64 s[12:13], s55, v34
	v_cmp_nlt_f32_e64 s[14:15], s55, v36
	v_fma_f32 v46, v35, s53, -v41
	v_rndne_f32_e32 v47, v41
	v_fmac_f32_e32 v42, 0x32a5705f, v34
	v_sub_f32_e32 v34, v39, v43
	v_fmac_f32_e32 v44, 0x32a5705f, v36
	v_sub_f32_e32 v36, v40, v45
	;; [unrolled: 2-line block ×3, first 2 shown]
	v_add_f32_e32 v34, v34, v42
	v_add_f32_e32 v36, v36, v44
	v_cvt_i32_f32_e32 v39, v43
	v_cvt_i32_f32_e32 v40, v45
	v_add_f32_e32 v41, v41, v46
	v_exp_f32_e32 v34, v34
	v_exp_f32_e32 v36, v36
	v_cvt_i32_f32_e32 v43, v47
	v_exp_f32_e32 v41, v41
	v_cmp_ngt_f32_e64 s[10:11], s54, v35
	v_cmp_nlt_f32_e64 s[16:17], s55, v35
	v_ldexp_f32 v34, v34, v39
	v_ldexp_f32 v35, v36, v40
	;; [unrolled: 1-line block ×3, first 2 shown]
	v_cndmask_b32_e64 v34, 0, v34, s[6:7]
	v_cndmask_b32_e64 v35, 0, v35, s[8:9]
	;; [unrolled: 1-line block ×6, first 2 shown]
	v_add_f32_e32 v34, v34, v35
	v_add_f32_e32 v34, v36, v34
	v_cmp_gt_f32_e64 s[6:7], s57, v34
	v_cndmask_b32_e64 v35, 0, 32, s[6:7]
	v_ldexp_f32 v34, v34, v35
	v_log_f32_e32 v34, v34
	v_mov_b32_e32 v35, 0x41b17218
	v_cndmask_b32_e64 v35, 0, v35, s[6:7]
	s_or_b64 s[42:43], s[42:43], exec
	v_mul_f32_e32 v36, 0x3f317217, v34
	v_fma_f32 v36, v34, s58, -v36
	v_fmac_f32_e32 v36, 0x3377d1cf, v34
	v_cmp_lt_f32_e64 s[6:7], |v34|, s56
	v_fmac_f32_e32 v36, 0x3f317217, v34
	v_cndmask_b32_e64 v34, v34, v36, s[6:7]
	v_sub_f32_e32 v34, v34, v35
	v_add_f32_e32 v34, v37, v34
	s_waitcnt vmcnt(0)
	v_add_f32_e32 v34, v38, v34
	s_or_b64 exec, exec, s[44:45]
	s_and_saveexec_b64 s[8:9], s[42:43]
	s_cbranch_execz .LBB15_28
.LBB15_42:                              ;   in Loop: Header=BB15_29 Depth=2
	v_add_co_u32_e64 v35, s[6:7], v29, v9
	v_addc_co_u32_e64 v36, s[6:7], v30, v10, s[6:7]
	global_store_dword v[35:36], v34, off
	s_branch .LBB15_28
.LBB15_43:
	s_endpgm
.LBB15_44:
                                        ; implicit-def: $sgpr8_sgpr9
	s_branch .LBB15_4
	.section	.rodata,"a",@progbits
	.p2align	6, 0x0
	.amdhsa_kernel _ZN2at6native12_GLOBAL__N_137ctc_loss_backward_log_beta_gpu_kernelIfiEEvPT_PKS3_PKllPKT0_S8_lllllllS8_lll
		.amdhsa_group_segment_fixed_size 0
		.amdhsa_private_segment_fixed_size 0
		.amdhsa_kernarg_size 392
		.amdhsa_user_sgpr_count 6
		.amdhsa_user_sgpr_private_segment_buffer 1
		.amdhsa_user_sgpr_dispatch_ptr 0
		.amdhsa_user_sgpr_queue_ptr 0
		.amdhsa_user_sgpr_kernarg_segment_ptr 1
		.amdhsa_user_sgpr_dispatch_id 0
		.amdhsa_user_sgpr_flat_scratch_init 0
		.amdhsa_user_sgpr_private_segment_size 0
		.amdhsa_uses_dynamic_stack 0
		.amdhsa_system_sgpr_private_segment_wavefront_offset 0
		.amdhsa_system_sgpr_workgroup_id_x 1
		.amdhsa_system_sgpr_workgroup_id_y 1
		.amdhsa_system_sgpr_workgroup_id_z 0
		.amdhsa_system_sgpr_workgroup_info 0
		.amdhsa_system_vgpr_workitem_id 1
		.amdhsa_next_free_vgpr 48
		.amdhsa_next_free_sgpr 59
		.amdhsa_reserve_vcc 1
		.amdhsa_reserve_flat_scratch 0
		.amdhsa_float_round_mode_32 0
		.amdhsa_float_round_mode_16_64 0
		.amdhsa_float_denorm_mode_32 3
		.amdhsa_float_denorm_mode_16_64 3
		.amdhsa_dx10_clamp 1
		.amdhsa_ieee_mode 1
		.amdhsa_fp16_overflow 0
		.amdhsa_exception_fp_ieee_invalid_op 0
		.amdhsa_exception_fp_denorm_src 0
		.amdhsa_exception_fp_ieee_div_zero 0
		.amdhsa_exception_fp_ieee_overflow 0
		.amdhsa_exception_fp_ieee_underflow 0
		.amdhsa_exception_fp_ieee_inexact 0
		.amdhsa_exception_int_div_zero 0
	.end_amdhsa_kernel
	.section	.text._ZN2at6native12_GLOBAL__N_137ctc_loss_backward_log_beta_gpu_kernelIfiEEvPT_PKS3_PKllPKT0_S8_lllllllS8_lll,"axG",@progbits,_ZN2at6native12_GLOBAL__N_137ctc_loss_backward_log_beta_gpu_kernelIfiEEvPT_PKS3_PKllPKT0_S8_lllllllS8_lll,comdat
.Lfunc_end15:
	.size	_ZN2at6native12_GLOBAL__N_137ctc_loss_backward_log_beta_gpu_kernelIfiEEvPT_PKS3_PKllPKT0_S8_lllllllS8_lll, .Lfunc_end15-_ZN2at6native12_GLOBAL__N_137ctc_loss_backward_log_beta_gpu_kernelIfiEEvPT_PKS3_PKllPKT0_S8_lllllllS8_lll
                                        ; -- End function
	.set _ZN2at6native12_GLOBAL__N_137ctc_loss_backward_log_beta_gpu_kernelIfiEEvPT_PKS3_PKllPKT0_S8_lllllllS8_lll.num_vgpr, 48
	.set _ZN2at6native12_GLOBAL__N_137ctc_loss_backward_log_beta_gpu_kernelIfiEEvPT_PKS3_PKllPKT0_S8_lllllllS8_lll.num_agpr, 0
	.set _ZN2at6native12_GLOBAL__N_137ctc_loss_backward_log_beta_gpu_kernelIfiEEvPT_PKS3_PKllPKT0_S8_lllllllS8_lll.numbered_sgpr, 59
	.set _ZN2at6native12_GLOBAL__N_137ctc_loss_backward_log_beta_gpu_kernelIfiEEvPT_PKS3_PKllPKT0_S8_lllllllS8_lll.num_named_barrier, 0
	.set _ZN2at6native12_GLOBAL__N_137ctc_loss_backward_log_beta_gpu_kernelIfiEEvPT_PKS3_PKllPKT0_S8_lllllllS8_lll.private_seg_size, 0
	.set _ZN2at6native12_GLOBAL__N_137ctc_loss_backward_log_beta_gpu_kernelIfiEEvPT_PKS3_PKllPKT0_S8_lllllllS8_lll.uses_vcc, 1
	.set _ZN2at6native12_GLOBAL__N_137ctc_loss_backward_log_beta_gpu_kernelIfiEEvPT_PKS3_PKllPKT0_S8_lllllllS8_lll.uses_flat_scratch, 0
	.set _ZN2at6native12_GLOBAL__N_137ctc_loss_backward_log_beta_gpu_kernelIfiEEvPT_PKS3_PKllPKT0_S8_lllllllS8_lll.has_dyn_sized_stack, 0
	.set _ZN2at6native12_GLOBAL__N_137ctc_loss_backward_log_beta_gpu_kernelIfiEEvPT_PKS3_PKllPKT0_S8_lllllllS8_lll.has_recursion, 0
	.set _ZN2at6native12_GLOBAL__N_137ctc_loss_backward_log_beta_gpu_kernelIfiEEvPT_PKS3_PKllPKT0_S8_lllllllS8_lll.has_indirect_call, 0
	.section	.AMDGPU.csdata,"",@progbits
; Kernel info:
; codeLenInByte = 3332
; TotalNumSgprs: 63
; NumVgprs: 48
; ScratchSize: 0
; MemoryBound: 0
; FloatMode: 240
; IeeeMode: 1
; LDSByteSize: 0 bytes/workgroup (compile time only)
; SGPRBlocks: 7
; VGPRBlocks: 11
; NumSGPRsForWavesPerEU: 63
; NumVGPRsForWavesPerEU: 48
; Occupancy: 5
; WaveLimiterHint : 1
; COMPUTE_PGM_RSRC2:SCRATCH_EN: 0
; COMPUTE_PGM_RSRC2:USER_SGPR: 6
; COMPUTE_PGM_RSRC2:TRAP_HANDLER: 0
; COMPUTE_PGM_RSRC2:TGID_X_EN: 1
; COMPUTE_PGM_RSRC2:TGID_Y_EN: 1
; COMPUTE_PGM_RSRC2:TGID_Z_EN: 0
; COMPUTE_PGM_RSRC2:TIDIG_COMP_CNT: 1
	.section	.text._ZN2at6native12_GLOBAL__N_145ctc_loss_backward_collect_nonblank_gpu_kernelIfiEEvPT_PKS3_lS6_S6_S6_PKlPKT0_S8_S6_llllllllllllS8_llb,"axG",@progbits,_ZN2at6native12_GLOBAL__N_145ctc_loss_backward_collect_nonblank_gpu_kernelIfiEEvPT_PKS3_lS6_S6_S6_PKlPKT0_S8_S6_llllllllllllS8_llb,comdat
	.globl	_ZN2at6native12_GLOBAL__N_145ctc_loss_backward_collect_nonblank_gpu_kernelIfiEEvPT_PKS3_lS6_S6_S6_PKlPKT0_S8_S6_llllllllllllS8_llb ; -- Begin function _ZN2at6native12_GLOBAL__N_145ctc_loss_backward_collect_nonblank_gpu_kernelIfiEEvPT_PKS3_lS6_S6_S6_PKlPKT0_S8_S6_llllllllllllS8_llb
	.p2align	8
	.type	_ZN2at6native12_GLOBAL__N_145ctc_loss_backward_collect_nonblank_gpu_kernelIfiEEvPT_PKS3_lS6_S6_S6_PKlPKT0_S8_S6_llllllllllllS8_llb,@function
_ZN2at6native12_GLOBAL__N_145ctc_loss_backward_collect_nonblank_gpu_kernelIfiEEvPT_PKS3_lS6_S6_S6_PKlPKT0_S8_S6_llllllllllllS8_llb: ; @_ZN2at6native12_GLOBAL__N_145ctc_loss_backward_collect_nonblank_gpu_kernelIfiEEvPT_PKS3_lS6_S6_S6_PKlPKT0_S8_S6_llllllllllllS8_llb
; %bb.0:
	s_load_dword s0, s[4:5], 0xdc
	s_load_dwordx4 s[24:27], s[4:5], 0xb8
	v_mov_b32_e32 v3, 0
	s_waitcnt lgkmcnt(0)
	s_lshr_b32 s1, s0, 16
	s_mul_i32 s7, s7, s1
	v_add_u32_e32 v2, s7, v1
	v_cmp_gt_i64_e32 vcc, s[26:27], v[2:3]
	s_and_saveexec_b64 s[2:3], vcc
	s_cbranch_execz .LBB16_7
; %bb.1:
	s_load_dwordx2 s[2:3], s[4:5], 0x40
	v_lshlrev_b64 v[6:7], 3, v[2:3]
	s_and_b32 s0, s0, 0xffff
	s_waitcnt lgkmcnt(0)
	v_mov_b32_e32 v1, s3
	v_add_co_u32_e32 v4, vcc, s2, v6
	v_addc_co_u32_e32 v5, vcc, v1, v7, vcc
	global_load_dwordx2 v[8:9], v[4:5], off
	v_mov_b32_e32 v1, v3
	v_mov_b32_e32 v4, s6
	v_mad_u64_u32 v[4:5], s[0:1], s0, v4, v[0:1]
	s_waitcnt vmcnt(0)
	v_cmp_lt_i64_e32 vcc, v[4:5], v[8:9]
	s_and_b64 exec, exec, vcc
	s_cbranch_execz .LBB16_7
; %bb.2:
	s_load_dword s6, s[4:5], 0xc8
	s_load_dwordx2 s[0:1], s[4:5], 0x30
	s_load_dwordx2 s[2:3], s[4:5], 0x48
	s_mov_b32 s7, 0x7f800000
	s_waitcnt lgkmcnt(0)
	s_bitcmp1_b32 s6, 0
	v_mov_b32_e32 v0, s1
	v_add_co_u32_e32 v9, vcc, s0, v6
	v_addc_co_u32_e32 v10, vcc, v0, v7, vcc
	v_lshlrev_b64 v[0:1], 2, v[2:3]
	v_mov_b32_e32 v3, s3
	v_add_co_u32_e32 v11, vcc, s2, v0
	v_addc_co_u32_e32 v12, vcc, v3, v1, vcc
	global_load_dword v8, v[11:12], off
	global_load_dwordx2 v[0:1], v[9:10], off
	s_cselect_b64 s[0:1], -1, 0
	s_xor_b64 s[2:3], s[0:1], -1
	s_waitcnt vmcnt(1)
	v_cmp_neq_f32_e32 vcc, s7, v8
	s_waitcnt vmcnt(0)
	v_cmp_lt_i64_e64 s[0:1], 0, v[0:1]
	s_or_b64 s[6:7], s[2:3], vcc
	s_mov_b64 s[2:3], 0
	s_and_b64 s[0:1], s[6:7], s[0:1]
	s_and_b64 exec, exec, s[0:1]
	s_cbranch_execz .LBB16_7
; %bb.3:
	s_load_dwordx2 s[0:1], s[4:5], 0xb0
	v_mul_lo_u32 v11, v5, s24
	v_mul_lo_u32 v12, v4, s25
	v_mad_u64_u32 v[9:10], s[6:7], v4, s24, 0
	s_waitcnt lgkmcnt(0)
	v_mov_b32_e32 v3, s1
	v_add_co_u32_e32 v6, vcc, s0, v6
	v_addc_co_u32_e32 v7, vcc, v3, v7, vcc
	global_load_dwordx2 v[6:7], v[6:7], off
	s_load_dwordx8 s[36:43], s[4:5], 0x0
	s_load_dwordx2 s[0:1], s[4:5], 0x38
	s_load_dwordx16 s[8:23], s[4:5], 0x50
	v_add3_u32 v10, v10, v12, v11
	v_lshlrev_b64 v[3:4], 1, v[4:5]
	s_waitcnt lgkmcnt(0)
	v_mad_u64_u32 v[11:12], s[6:7], s40, v2, 0
	v_or_b32_e32 v5, 1, v3
	s_load_dwordx8 s[24:31], s[4:5], 0x90
	v_mov_b32_e32 v3, v12
	v_mad_u64_u32 v[17:18], s[6:7], s41, v2, v[3:4]
	v_mov_b32_e32 v19, s39
	s_waitcnt lgkmcnt(0)
	v_mul_lo_u32 v21, v4, s24
	v_mov_b32_e32 v12, v17
	v_lshlrev_b64 v[11:12], 2, v[11:12]
	v_mul_lo_u32 v23, v4, s30
	v_add_co_u32_e32 v11, vcc, s38, v11
	v_addc_co_u32_e32 v12, vcc, v19, v12, vcc
	v_mov_b32_e32 v20, s1
	v_lshlrev_b64 v[9:10], 2, v[9:10]
	v_mad_u64_u32 v[13:14], s[6:7], s10, v2, 0
	v_mad_u64_u32 v[15:16], s[6:7], s16, v2, 0
	v_mul_lo_u32 v22, v5, s25
	v_mad_u64_u32 v[17:18], s[6:7], v5, s24, 0
	v_mov_b32_e32 v26, s43
	s_mov_b32 s6, 0x3fb8aa3b
	v_add3_u32 v18, v18, v22, v21
	s_mov_b32 s7, 0xc2ce8ed0
	s_mov_b32 s10, 0x42b17218
	s_waitcnt vmcnt(0)
	v_lshlrev_b64 v[3:4], 2, v[6:7]
	v_mul_lo_u32 v6, v5, s31
	v_add_co_u32_e32 v3, vcc, s0, v3
	v_addc_co_u32_e32 v4, vcc, v20, v4, vcc
	v_add_co_u32_e32 v3, vcc, v3, v9
	v_addc_co_u32_e32 v4, vcc, v4, v10, vcc
	v_mad_u64_u32 v[9:10], s[0:1], v5, s30, 0
	v_mad_u64_u32 v[19:20], s[0:1], s20, v2, 0
	v_mov_b32_e32 v5, v14
	v_add3_u32 v10, v10, v6, v23
	v_mov_b32_e32 v6, v16
	v_mad_u64_u32 v[21:22], s[0:1], s11, v2, v[5:6]
	v_mad_u64_u32 v[5:6], s[0:1], s17, v2, v[6:7]
	v_mov_b32_e32 v6, v20
	v_mad_u64_u32 v[22:23], s[0:1], s21, v2, v[6:7]
	v_mad_u64_u32 v[23:24], s[0:1], s26, v2, 0
	v_mov_b32_e32 v14, v21
	v_mov_b32_e32 v16, v5
	;; [unrolled: 1-line block ×3, first 2 shown]
	v_mad_u64_u32 v[24:25], s[0:1], s27, v2, v[6:7]
	global_load_dword v21, v[3:4], off
	global_load_dword v6, v[11:12], off
	s_load_dwordx4 s[24:27], s[4:5], 0x20
	v_lshlrev_b64 v[4:5], 2, v[9:10]
	v_lshlrev_b64 v[9:10], 2, v[15:16]
	;; [unrolled: 1-line block ×4, first 2 shown]
	s_waitcnt lgkmcnt(0)
	v_mov_b32_e32 v25, s27
	v_add_co_u32_e32 v17, vcc, s26, v9
	v_mov_b32_e32 v20, v22
	v_addc_co_u32_e32 v18, vcc, v25, v10, vcc
	v_mov_b32_e32 v22, s37
	v_lshlrev_b64 v[13:14], 2, v[19:20]
	v_add_co_u32_e32 v19, vcc, s36, v11
	v_addc_co_u32_e32 v20, vcc, v22, v12, vcc
	v_lshlrev_b64 v[15:16], 2, v[23:24]
	v_add_co_u32_e32 v9, vcc, s42, v13
	v_addc_co_u32_e32 v10, vcc, v26, v14, vcc
	v_mov_b32_e32 v27, s25
	v_add_co_u32_e32 v11, vcc, s24, v15
	v_addc_co_u32_e32 v12, vcc, v27, v16, vcc
	v_add_co_u32_e32 v9, vcc, v9, v2
	v_addc_co_u32_e32 v10, vcc, v10, v3, vcc
	;; [unrolled: 2-line block ×3, first 2 shown]
	v_mov_b32_e32 v7, 0x7f800000
	s_waitcnt vmcnt(1)
	v_ashrrev_i32_e32 v15, 31, v21
	v_mul_lo_u32 v16, s19, v21
	v_mad_u64_u32 v[2:3], s[0:1], s18, v21, 0
	v_mul_lo_u32 v22, s13, v21
	v_mad_u64_u32 v[13:14], s[0:1], s12, v21, 0
	v_mul_lo_u32 v21, s18, v15
	v_mul_lo_u32 v15, s12, v15
	s_mov_b64 s[0:1], 0
	v_add3_u32 v3, v3, v21, v16
	v_lshlrev_b64 v[2:3], 2, v[2:3]
	v_add3_u32 v14, v14, v15, v22
	v_lshlrev_b64 v[4:5], 2, v[13:14]
	v_add_co_u32_e32 v13, vcc, v17, v2
	v_addc_co_u32_e32 v14, vcc, v18, v3, vcc
	v_add_co_u32_e32 v15, vcc, v19, v4
	v_addc_co_u32_e32 v16, vcc, v20, v5, vcc
.LBB16_4:                               ; =>This Loop Header: Depth=1
                                        ;     Child Loop BB16_5 Depth 2
	s_mul_i32 s4, s0, s15
	s_mul_hi_u32 s5, s0, s14
	s_add_i32 s4, s5, s4
	s_mul_i32 s5, s1, s14
	s_add_i32 s5, s4, s5
	s_mul_i32 s4, s0, s14
	s_lshl_b64 s[4:5], s[4:5], 2
	v_mov_b32_e32 v4, s5
	s_mul_i32 s5, s0, s23
	s_mul_hi_u32 s11, s0, s22
	s_add_i32 s5, s11, s5
	s_mul_i32 s11, s1, s22
	s_add_i32 s13, s5, s11
	s_mul_i32 s12, s0, s22
	s_mul_i32 s5, s0, s29
	s_mul_hi_u32 s11, s0, s28
	s_lshl_b64 s[12:13], s[12:13], 2
	s_add_i32 s5, s11, s5
	s_mul_i32 s11, s1, s28
	v_mov_b32_e32 v3, s13
	v_add_co_u32_e32 v2, vcc, s12, v9
	s_add_i32 s13, s5, s11
	s_mul_i32 s12, s0, s28
	v_addc_co_u32_e32 v3, vcc, v10, v3, vcc
	s_lshl_b64 s[12:13], s[12:13], 2
	global_load_dword v17, v[2:3], off
	v_mov_b32_e32 v3, s13
	v_add_co_u32_e32 v2, vcc, s12, v11
	v_addc_co_u32_e32 v3, vcc, v12, v3, vcc
	global_load_dword v18, v[2:3], off
	v_add_co_u32_e32 v2, vcc, s4, v13
	v_addc_co_u32_e32 v3, vcc, v14, v4, vcc
	global_load_dword v4, v[2:3], off
	s_mul_i32 s4, s0, s9
	s_mul_hi_u32 s5, s0, s8
	s_add_i32 s4, s5, s4
	s_mul_i32 s5, s1, s8
	s_add_i32 s5, s4, s5
	s_mul_i32 s4, s0, s8
	s_lshl_b64 s[4:5], s[4:5], 2
	v_mov_b32_e32 v3, s5
	v_add_co_u32_e32 v2, vcc, s4, v15
	v_addc_co_u32_e32 v3, vcc, v16, v3, vcc
	global_load_dword v5, v[2:3], off
	s_mov_b64 s[4:5], 0
	s_waitcnt vmcnt(2)
	v_add_f32_e32 v17, v17, v18
	v_add_f32_e32 v17, v8, v17
	s_waitcnt vmcnt(1)
	v_sub_f32_e32 v4, v17, v4
	v_mul_f32_e32 v17, 0x3fb8aa3b, v4
	v_fma_f32 v18, v4, s6, -v17
	v_rndne_f32_e32 v19, v17
	v_fmac_f32_e32 v18, 0x32a5705f, v4
	v_sub_f32_e32 v17, v17, v19
	v_add_f32_e32 v17, v17, v18
	v_cvt_i32_f32_e32 v19, v19
	v_exp_f32_e32 v17, v17
	v_cmp_ngt_f32_e32 vcc, s7, v4
	v_ldexp_f32 v17, v17, v19
	v_cndmask_b32_e32 v17, 0, v17, vcc
	v_cmp_nlt_f32_e32 vcc, s10, v4
	v_cndmask_b32_e32 v4, v7, v17, vcc
	v_mul_f32_e64 v17, v6, -v4
.LBB16_5:                               ;   Parent Loop BB16_4 Depth=1
                                        ; =>  This Inner Loop Header: Depth=2
	s_waitcnt vmcnt(0)
	v_add_f32_e32 v4, v5, v17
	global_atomic_cmpswap v4, v[2:3], v[4:5], off glc
	s_waitcnt vmcnt(0)
	v_cmp_eq_u32_e32 vcc, v4, v5
	s_or_b64 s[4:5], vcc, s[4:5]
	v_mov_b32_e32 v5, v4
	s_andn2_b64 exec, exec, s[4:5]
	s_cbranch_execnz .LBB16_5
; %bb.6:                                ;   in Loop: Header=BB16_4 Depth=1
	s_or_b64 exec, exec, s[4:5]
	s_add_u32 s0, s0, 1
	s_addc_u32 s1, s1, 0
	v_cmp_eq_u64_e32 vcc, s[0:1], v[0:1]
	s_or_b64 s[2:3], vcc, s[2:3]
	s_andn2_b64 exec, exec, s[2:3]
	s_cbranch_execnz .LBB16_4
.LBB16_7:
	s_endpgm
	.section	.rodata,"a",@progbits
	.p2align	6, 0x0
	.amdhsa_kernel _ZN2at6native12_GLOBAL__N_145ctc_loss_backward_collect_nonblank_gpu_kernelIfiEEvPT_PKS3_lS6_S6_S6_PKlPKT0_S8_S6_llllllllllllS8_llb
		.amdhsa_group_segment_fixed_size 0
		.amdhsa_private_segment_fixed_size 0
		.amdhsa_kernarg_size 464
		.amdhsa_user_sgpr_count 6
		.amdhsa_user_sgpr_private_segment_buffer 1
		.amdhsa_user_sgpr_dispatch_ptr 0
		.amdhsa_user_sgpr_queue_ptr 0
		.amdhsa_user_sgpr_kernarg_segment_ptr 1
		.amdhsa_user_sgpr_dispatch_id 0
		.amdhsa_user_sgpr_flat_scratch_init 0
		.amdhsa_user_sgpr_private_segment_size 0
		.amdhsa_uses_dynamic_stack 0
		.amdhsa_system_sgpr_private_segment_wavefront_offset 0
		.amdhsa_system_sgpr_workgroup_id_x 1
		.amdhsa_system_sgpr_workgroup_id_y 1
		.amdhsa_system_sgpr_workgroup_id_z 0
		.amdhsa_system_sgpr_workgroup_info 0
		.amdhsa_system_vgpr_workitem_id 1
		.amdhsa_next_free_vgpr 28
		.amdhsa_next_free_sgpr 44
		.amdhsa_reserve_vcc 1
		.amdhsa_reserve_flat_scratch 0
		.amdhsa_float_round_mode_32 0
		.amdhsa_float_round_mode_16_64 0
		.amdhsa_float_denorm_mode_32 3
		.amdhsa_float_denorm_mode_16_64 3
		.amdhsa_dx10_clamp 1
		.amdhsa_ieee_mode 1
		.amdhsa_fp16_overflow 0
		.amdhsa_exception_fp_ieee_invalid_op 0
		.amdhsa_exception_fp_denorm_src 0
		.amdhsa_exception_fp_ieee_div_zero 0
		.amdhsa_exception_fp_ieee_overflow 0
		.amdhsa_exception_fp_ieee_underflow 0
		.amdhsa_exception_fp_ieee_inexact 0
		.amdhsa_exception_int_div_zero 0
	.end_amdhsa_kernel
	.section	.text._ZN2at6native12_GLOBAL__N_145ctc_loss_backward_collect_nonblank_gpu_kernelIfiEEvPT_PKS3_lS6_S6_S6_PKlPKT0_S8_S6_llllllllllllS8_llb,"axG",@progbits,_ZN2at6native12_GLOBAL__N_145ctc_loss_backward_collect_nonblank_gpu_kernelIfiEEvPT_PKS3_lS6_S6_S6_PKlPKT0_S8_S6_llllllllllllS8_llb,comdat
.Lfunc_end16:
	.size	_ZN2at6native12_GLOBAL__N_145ctc_loss_backward_collect_nonblank_gpu_kernelIfiEEvPT_PKS3_lS6_S6_S6_PKlPKT0_S8_S6_llllllllllllS8_llb, .Lfunc_end16-_ZN2at6native12_GLOBAL__N_145ctc_loss_backward_collect_nonblank_gpu_kernelIfiEEvPT_PKS3_lS6_S6_S6_PKlPKT0_S8_S6_llllllllllllS8_llb
                                        ; -- End function
	.set _ZN2at6native12_GLOBAL__N_145ctc_loss_backward_collect_nonblank_gpu_kernelIfiEEvPT_PKS3_lS6_S6_S6_PKlPKT0_S8_S6_llllllllllllS8_llb.num_vgpr, 28
	.set _ZN2at6native12_GLOBAL__N_145ctc_loss_backward_collect_nonblank_gpu_kernelIfiEEvPT_PKS3_lS6_S6_S6_PKlPKT0_S8_S6_llllllllllllS8_llb.num_agpr, 0
	.set _ZN2at6native12_GLOBAL__N_145ctc_loss_backward_collect_nonblank_gpu_kernelIfiEEvPT_PKS3_lS6_S6_S6_PKlPKT0_S8_S6_llllllllllllS8_llb.numbered_sgpr, 44
	.set _ZN2at6native12_GLOBAL__N_145ctc_loss_backward_collect_nonblank_gpu_kernelIfiEEvPT_PKS3_lS6_S6_S6_PKlPKT0_S8_S6_llllllllllllS8_llb.num_named_barrier, 0
	.set _ZN2at6native12_GLOBAL__N_145ctc_loss_backward_collect_nonblank_gpu_kernelIfiEEvPT_PKS3_lS6_S6_S6_PKlPKT0_S8_S6_llllllllllllS8_llb.private_seg_size, 0
	.set _ZN2at6native12_GLOBAL__N_145ctc_loss_backward_collect_nonblank_gpu_kernelIfiEEvPT_PKS3_lS6_S6_S6_PKlPKT0_S8_S6_llllllllllllS8_llb.uses_vcc, 1
	.set _ZN2at6native12_GLOBAL__N_145ctc_loss_backward_collect_nonblank_gpu_kernelIfiEEvPT_PKS3_lS6_S6_S6_PKlPKT0_S8_S6_llllllllllllS8_llb.uses_flat_scratch, 0
	.set _ZN2at6native12_GLOBAL__N_145ctc_loss_backward_collect_nonblank_gpu_kernelIfiEEvPT_PKS3_lS6_S6_S6_PKlPKT0_S8_S6_llllllllllllS8_llb.has_dyn_sized_stack, 0
	.set _ZN2at6native12_GLOBAL__N_145ctc_loss_backward_collect_nonblank_gpu_kernelIfiEEvPT_PKS3_lS6_S6_S6_PKlPKT0_S8_S6_llllllllllllS8_llb.has_recursion, 0
	.set _ZN2at6native12_GLOBAL__N_145ctc_loss_backward_collect_nonblank_gpu_kernelIfiEEvPT_PKS3_lS6_S6_S6_PKlPKT0_S8_S6_llllllllllllS8_llb.has_indirect_call, 0
	.section	.AMDGPU.csdata,"",@progbits
; Kernel info:
; codeLenInByte = 1264
; TotalNumSgprs: 48
; NumVgprs: 28
; ScratchSize: 0
; MemoryBound: 0
; FloatMode: 240
; IeeeMode: 1
; LDSByteSize: 0 bytes/workgroup (compile time only)
; SGPRBlocks: 5
; VGPRBlocks: 6
; NumSGPRsForWavesPerEU: 48
; NumVGPRsForWavesPerEU: 28
; Occupancy: 9
; WaveLimiterHint : 1
; COMPUTE_PGM_RSRC2:SCRATCH_EN: 0
; COMPUTE_PGM_RSRC2:USER_SGPR: 6
; COMPUTE_PGM_RSRC2:TRAP_HANDLER: 0
; COMPUTE_PGM_RSRC2:TGID_X_EN: 1
; COMPUTE_PGM_RSRC2:TGID_Y_EN: 1
; COMPUTE_PGM_RSRC2:TGID_Z_EN: 0
; COMPUTE_PGM_RSRC2:TIDIG_COMP_CNT: 1
	.section	.text._ZN2at6native12_GLOBAL__N_136ctc_loss_backward_collect_gpu_kernelIfiEEvPT_PKS3_lS6_S6_S6_PKllPKT0_S8_lS6_llllllllllllS8_llllb,"axG",@progbits,_ZN2at6native12_GLOBAL__N_136ctc_loss_backward_collect_gpu_kernelIfiEEvPT_PKS3_lS6_S6_S6_PKllPKT0_S8_lS6_llllllllllllS8_llllb,comdat
	.globl	_ZN2at6native12_GLOBAL__N_136ctc_loss_backward_collect_gpu_kernelIfiEEvPT_PKS3_lS6_S6_S6_PKllPKT0_S8_lS6_llllllllllllS8_llllb ; -- Begin function _ZN2at6native12_GLOBAL__N_136ctc_loss_backward_collect_gpu_kernelIfiEEvPT_PKS3_lS6_S6_S6_PKllPKT0_S8_lS6_llllllllllllS8_llllb
	.p2align	8
	.type	_ZN2at6native12_GLOBAL__N_136ctc_loss_backward_collect_gpu_kernelIfiEEvPT_PKS3_lS6_S6_S6_PKllPKT0_S8_lS6_llllllllllllS8_llllb,@function
_ZN2at6native12_GLOBAL__N_136ctc_loss_backward_collect_gpu_kernelIfiEEvPT_PKS3_lS6_S6_S6_PKllPKT0_S8_lS6_llllllllllllS8_llllb: ; @_ZN2at6native12_GLOBAL__N_136ctc_loss_backward_collect_gpu_kernelIfiEEvPT_PKS3_lS6_S6_S6_PKllPKT0_S8_lS6_llllllllllllS8_llllb
; %bb.0:
	s_load_dword s8, s[4:5], 0xfc
	s_load_dwordx2 s[0:1], s[4:5], 0x38
	s_load_dwordx8 s[24:31], s[4:5], 0xc8
	v_mov_b32_e32 v3, 0
	v_mov_b32_e32 v2, v1
	;; [unrolled: 1-line block ×3, first 2 shown]
	s_waitcnt lgkmcnt(0)
	s_and_b32 s2, s8, 0xffff
	v_mov_b32_e32 v4, s6
	v_mad_u64_u32 v[0:1], s[2:3], s2, v4, v[0:1]
	s_lshr_b32 s2, s8, 16
	s_mul_i32 s7, s7, s2
	v_add_u32_e32 v2, s7, v2
	v_cmp_gt_i64_e32 vcc, s[0:1], v[0:1]
	v_cmp_gt_i64_e64 s[0:1], s[26:27], v[2:3]
	s_and_b64 s[0:1], vcc, s[0:1]
	s_and_saveexec_b64 s[2:3], s[0:1]
	s_cbranch_execz .LBB17_15
; %bb.1:
	s_load_dwordx2 s[0:1], s[4:5], 0x30
	s_load_dwordx2 s[26:27], s[4:5], 0x50
	v_lshlrev_b64 v[8:9], 3, v[2:3]
	s_load_dwordx16 s[8:23], s[4:5], 0x60
	s_load_dwordx2 s[6:7], s[4:5], 0x0
	s_waitcnt lgkmcnt(0)
	v_mov_b32_e32 v5, s1
	v_add_co_u32_e32 v4, vcc, s0, v8
	v_addc_co_u32_e32 v5, vcc, v5, v9, vcc
	global_load_dwordx2 v[4:5], v[4:5], off
	v_mad_u64_u32 v[6:7], s[0:1], s10, v2, 0
	v_mul_lo_u32 v16, v1, s8
	v_mul_lo_u32 v17, v0, s9
	v_mad_u64_u32 v[10:11], s[0:1], s11, v2, v[7:8]
	v_cmp_lt_i64_e64 s[0:1], s[26:27], 0
	s_mov_b64 s[10:11], 0
	v_mov_b32_e32 v7, v10
	v_lshlrev_b64 v[6:7], 2, v[6:7]
	s_and_b64 vcc, exec, s[0:1]
	s_cbranch_vccnz .LBB17_10
; %bb.2:
	s_load_dwordx2 s[34:35], s[4:5], 0xc0
	s_load_dwordx4 s[0:3], s[4:5], 0x40
	s_load_dwordx4 s[44:47], s[4:5], 0x18
	v_mul_lo_u32 v20, v1, s22
	v_mul_lo_u32 v21, v0, s23
	s_waitcnt lgkmcnt(0)
	v_mov_b32_e32 v11, s35
	v_add_co_u32_e32 v10, vcc, s34, v8
	v_addc_co_u32_e32 v11, vcc, v11, v9, vcc
	v_mov_b32_e32 v12, s3
	v_add_co_u32_e32 v8, vcc, s2, v8
	v_addc_co_u32_e32 v9, vcc, v12, v9, vcc
	global_load_dwordx2 v[12:13], v[8:9], off
	global_load_dwordx2 v[14:15], v[10:11], off
	v_mad_u64_u32 v[10:11], s[2:3], v0, s22, 0
	v_mad_u64_u32 v[18:19], s[22:23], v0, s8, 0
	;; [unrolled: 1-line block ×3, first 2 shown]
	s_load_dwordx8 s[36:43], s[4:5], 0xa0
	v_add3_u32 v19, v19, v17, v16
	v_mov_b32_e32 v22, s7
	v_add_co_u32_e32 v23, vcc, s6, v6
	v_lshlrev_b64 v[18:19], 2, v[18:19]
	v_addc_co_u32_e32 v24, vcc, v22, v7, vcc
	v_add3_u32 v11, v11, v21, v20
	v_mad_u64_u32 v[20:21], s[20:21], s21, v2, v[9:10]
	v_add_co_u32_e32 v18, vcc, v23, v18
	v_addc_co_u32_e32 v19, vcc, v24, v19, vcc
	s_waitcnt lgkmcnt(0)
	v_mad_u64_u32 v[23:24], s[20:21], s38, v2, 0
	v_mul_lo_u32 v25, v1, s40
	v_mul_lo_u32 v27, v0, s41
	v_mad_u64_u32 v[21:22], s[20:21], v0, s40, 0
	v_mov_b32_e32 v9, v20
	v_mov_b32_e32 v20, v24
	v_lshlrev_b64 v[8:9], 2, v[8:9]
	v_add3_u32 v22, v22, v27, v25
	v_mad_u64_u32 v[24:25], s[34:35], s39, v2, v[20:21]
	v_mov_b32_e32 v26, s45
	v_lshlrev_b64 v[10:11], 2, v[10:11]
	v_add_co_u32_e32 v8, vcc, s44, v8
	v_addc_co_u32_e32 v9, vcc, v26, v9, vcc
	v_add_co_u32_e32 v8, vcc, v8, v10
	v_addc_co_u32_e32 v9, vcc, v9, v11, vcc
	v_lshlrev_b64 v[10:11], 2, v[23:24]
	v_mov_b32_e32 v28, s47
	v_lshlrev_b64 v[20:21], 2, v[21:22]
	v_add_co_u32_e32 v10, vcc, s46, v10
	v_addc_co_u32_e32 v11, vcc, v28, v11, vcc
	v_add_co_u32_e32 v10, vcc, v10, v20
	v_addc_co_u32_e32 v11, vcc, v11, v21, vcc
	v_mov_b32_e32 v29, s1
	s_lshl_b64 s[2:3], s[26:27], 1
	s_mov_b32 s23, 0
	s_mov_b32 s9, 0xff800000
	;; [unrolled: 1-line block ×7, first 2 shown]
	s_lshl_b64 s[20:21], s[36:37], 2
	s_lshl_b64 s[26:27], s[42:43], 2
	s_mov_b32 s38, 0x3f317217
	v_mov_b32_e32 v22, 0x7f800000
	v_mov_b32_e32 v23, 0x41b17218
	s_waitcnt vmcnt(1)
	v_lshlrev_b64 v[12:13], 1, v[12:13]
	s_waitcnt vmcnt(0)
	v_lshlrev_b64 v[14:15], 2, v[14:15]
	v_add_co_u32_e32 v20, vcc, s0, v14
	v_addc_co_u32_e32 v21, vcc, v29, v15, vcc
	s_branch .LBB17_5
.LBB17_3:                               ;   in Loop: Header=BB17_5 Depth=1
	s_or_b64 exec, exec, s[36:37]
	global_store_dword v[14:15], v24, off
.LBB17_4:                               ;   in Loop: Header=BB17_5 Depth=1
	s_or_b64 exec, exec, s[34:35]
	s_add_u32 s10, s10, 1
	s_addc_u32 s11, s11, 0
	v_mov_b32_e32 v14, s21
	v_add_co_u32_e32 v8, vcc, s20, v8
	v_addc_co_u32_e32 v9, vcc, v9, v14, vcc
	v_mov_b32_e32 v15, s11
	v_mov_b32_e32 v14, s10
	v_cmp_lt_i64_e32 vcc, s[2:3], v[14:15]
	v_mov_b32_e32 v24, s27
	v_add_co_u32_e64 v10, s[0:1], s26, v10
	v_addc_co_u32_e64 v11, s[0:1], v11, v24, s[0:1]
	s_cbranch_vccnz .LBB17_10
.LBB17_5:                               ; =>This Inner Loop Header: Depth=1
	v_cmp_le_i64_e32 vcc, s[10:11], v[12:13]
	s_and_saveexec_b64 s[34:35], vcc
	s_cbranch_execz .LBB17_4
; %bb.6:                                ;   in Loop: Header=BB17_5 Depth=1
	s_and_b32 s22, s10, 1
	v_mov_b32_e32 v14, s30
	s_cmp_eq_u64 s[22:23], 0
	v_mov_b32_e32 v15, s31
	s_cbranch_scc1 .LBB17_8
; %bb.7:                                ;   in Loop: Header=BB17_5 Depth=1
	s_lshr_b64 s[0:1], s[10:11], 1
	s_lshr_b32 s1, s11, 1
	s_mul_i32 s1, s24, s1
	s_mul_hi_u32 s22, s24, s0
	s_add_i32 s1, s22, s1
	s_mul_i32 s22, s25, s0
	s_add_i32 s1, s1, s22
	s_mul_i32 s0, s24, s0
	s_lshl_b64 s[0:1], s[0:1], 2
	v_mov_b32_e32 v15, s1
	v_add_co_u32_e32 v14, vcc, s0, v20
	v_addc_co_u32_e32 v15, vcc, v21, v15, vcc
	global_load_dword v14, v[14:15], off
	s_waitcnt vmcnt(0)
	v_ashrrev_i32_e32 v15, 31, v14
.LBB17_8:                               ;   in Loop: Header=BB17_5 Depth=1
	v_mul_lo_u32 v24, v15, s12
	v_mul_lo_u32 v25, v14, s13
	v_mad_u64_u32 v[14:15], s[0:1], v14, s12, 0
	global_load_dword v26, v[8:9], off
	global_load_dword v27, v[10:11], off
	v_add3_u32 v15, v15, v25, v24
	v_lshlrev_b64 v[14:15], 2, v[14:15]
	v_add_co_u32_e32 v14, vcc, v18, v14
	v_addc_co_u32_e32 v15, vcc, v19, v15, vcc
	global_load_dword v25, v[14:15], off
	s_waitcnt vmcnt(1)
	v_add_f32_e32 v24, v26, v27
	s_waitcnt vmcnt(0)
	v_cmp_neq_f32_e32 vcc, s9, v25
	s_and_saveexec_b64 s[36:37], vcc
	s_cbranch_execz .LBB17_3
; %bb.9:                                ;   in Loop: Header=BB17_5 Depth=1
	v_cmp_gt_f32_e32 vcc, v25, v24
	v_cndmask_b32_e32 v26, v24, v25, vcc
	v_sub_f32_e32 v25, v25, v26
	v_mul_f32_e32 v27, 0x3fb8aa3b, v25
	v_fma_f32 v28, v25, s33, -v27
	v_rndne_f32_e32 v29, v27
	v_fmac_f32_e32 v28, 0x32a5705f, v25
	v_sub_f32_e32 v27, v27, v29
	v_add_f32_e32 v27, v27, v28
	v_cvt_i32_f32_e32 v28, v29
	v_exp_f32_e32 v27, v27
	v_sub_f32_e32 v24, v24, v26
	v_cmp_ngt_f32_e32 vcc, s48, v25
	v_ldexp_f32 v27, v27, v28
	v_mul_f32_e32 v28, 0x3fb8aa3b, v24
	v_fma_f32 v29, v24, s33, -v28
	v_rndne_f32_e32 v30, v28
	v_fmac_f32_e32 v29, 0x32a5705f, v24
	v_sub_f32_e32 v28, v28, v30
	v_add_f32_e32 v28, v28, v29
	v_exp_f32_e32 v28, v28
	v_cvt_i32_f32_e32 v29, v30
	v_cndmask_b32_e32 v27, 0, v27, vcc
	v_cmp_nlt_f32_e32 vcc, s49, v25
	v_cndmask_b32_e32 v25, v22, v27, vcc
	v_ldexp_f32 v27, v28, v29
	v_cmp_ngt_f32_e32 vcc, s48, v24
	v_cndmask_b32_e32 v27, 0, v27, vcc
	v_cmp_nlt_f32_e32 vcc, s49, v24
	v_cndmask_b32_e32 v24, v22, v27, vcc
	v_add_f32_e32 v24, v25, v24
	v_cmp_gt_f32_e32 vcc, s51, v24
	v_cndmask_b32_e64 v25, 0, 32, vcc
	v_ldexp_f32 v24, v24, v25
	v_log_f32_e32 v24, v24
	v_mul_f32_e32 v25, 0x3f317217, v24
	v_fma_f32 v25, v24, s38, -v25
	v_fmac_f32_e32 v25, 0x3377d1cf, v24
	v_fmac_f32_e32 v25, 0x3f317217, v24
	v_cmp_lt_f32_e64 s[0:1], |v24|, s50
	v_cndmask_b32_e64 v24, v24, v25, s[0:1]
	v_cndmask_b32_e32 v25, 0, v23, vcc
	v_sub_f32_e32 v24, v24, v25
	v_add_f32_e32 v24, v26, v24
	s_branch .LBB17_3
.LBB17_10:
	v_cmp_lt_i64_e64 s[0:1], s[28:29], 1
	s_and_b64 vcc, exec, s[0:1]
	s_cbranch_vccnz .LBB17_15
; %bb.11:
	s_load_dwordx2 s[10:11], s[4:5], 0x58
	s_load_dwordx4 s[0:3], s[4:5], 0x8
	s_load_dwordx2 s[20:21], s[4:5], 0x28
	s_load_dword s9, s[4:5], 0xe8
	v_lshlrev_b64 v[8:9], 2, v[2:3]
	s_waitcnt lgkmcnt(0)
	v_mov_b32_e32 v3, s11
	v_mad_u64_u32 v[10:11], s[4:5], s2, v2, 0
	v_add_co_u32_e32 v8, vcc, s10, v8
	v_addc_co_u32_e32 v9, vcc, v3, v9, vcc
	v_mov_b32_e32 v3, v11
	s_waitcnt vmcnt(0)
	v_mad_u64_u32 v[11:12], s[2:3], s3, v2, v[3:4]
	global_load_dword v8, v[8:9], off
	v_mov_b32_e32 v3, s1
	v_lshlrev_b64 v[9:10], 2, v[10:11]
	s_bitcmp1_b32 s9, 0
	v_add_co_u32_e32 v9, vcc, s0, v9
	v_addc_co_u32_e32 v10, vcc, v3, v10, vcc
	global_load_dword v9, v[9:10], off
	v_mad_u64_u32 v[10:11], s[0:1], s16, v2, 0
	v_cmp_lt_i64_e32 vcc, v[0:1], v[4:5]
	v_mul_lo_u32 v4, v1, s14
	v_mad_u64_u32 v[12:13], s[0:1], v0, s8, 0
	v_mul_lo_u32 v5, v0, s15
	v_mad_u64_u32 v[0:1], s[0:1], v0, s14, 0
	v_mov_b32_e32 v3, s7
	v_add_co_u32_e64 v14, s[0:1], s6, v6
	v_addc_co_u32_e64 v7, s[0:1], v3, v7, s[0:1]
	v_mov_b32_e32 v3, v11
	v_mad_u64_u32 v[2:3], s[0:1], s17, v2, v[3:4]
	v_add3_u32 v13, v13, v17, v16
	v_add3_u32 v1, v1, v5, v4
	v_lshlrev_b64 v[3:4], 2, v[12:13]
	s_cselect_b64 s[0:1], -1, 0
	v_mov_b32_e32 v11, v2
	v_lshlrev_b64 v[5:6], 2, v[0:1]
	s_xor_b64 s[2:3], s[0:1], -1
	v_add_co_u32_e64 v0, s[0:1], v14, v3
	v_lshlrev_b64 v[2:3], 2, v[10:11]
	v_addc_co_u32_e64 v1, s[0:1], v7, v4, s[0:1]
	v_mov_b32_e32 v12, s21
	v_add_co_u32_e64 v2, s[0:1], s20, v2
	s_mov_b32 s4, 0x7f800000
	v_addc_co_u32_e64 v3, s[0:1], v12, v3, s[0:1]
	s_mov_b32 s8, 0x3fb8aa3b
	s_mov_b32 s9, 0xc2ce8ed0
	;; [unrolled: 1-line block ×3, first 2 shown]
	v_mov_b32_e32 v4, 0x7f800000
	s_waitcnt vmcnt(1)
	v_cmp_neq_f32_e64 s[0:1], s4, v8
	s_or_b64 s[0:1], s[2:3], s[0:1]
	s_and_b64 s[0:1], vcc, s[0:1]
	v_add_co_u32_e32 v2, vcc, v2, v5
	v_addc_co_u32_e32 v3, vcc, v3, v6, vcc
	s_lshl_b64 s[2:3], s[18:19], 2
	s_lshl_b64 s[4:5], s[12:13], 2
	s_branch .LBB17_13
.LBB17_12:                              ;   in Loop: Header=BB17_13 Depth=1
	s_or_b64 exec, exec, s[6:7]
	global_store_dword v[0:1], v5, off
	v_mov_b32_e32 v5, s3
	v_add_co_u32_e32 v2, vcc, s2, v2
	s_add_u32 s28, s28, -1
	v_addc_co_u32_e32 v3, vcc, v3, v5, vcc
	s_addc_u32 s29, s29, -1
	v_mov_b32_e32 v5, s5
	v_add_co_u32_e32 v0, vcc, s4, v0
	s_cmp_lg_u64 s[28:29], 0
	v_addc_co_u32_e32 v1, vcc, v1, v5, vcc
	s_cbranch_scc0 .LBB17_15
.LBB17_13:                              ; =>This Inner Loop Header: Depth=1
	v_mov_b32_e32 v5, 0
	s_and_saveexec_b64 s[6:7], s[0:1]
	s_cbranch_execz .LBB17_12
; %bb.14:                               ;   in Loop: Header=BB17_13 Depth=1
	global_load_dword v5, v[2:3], off
	global_load_dword v6, v[0:1], off
	s_waitcnt vmcnt(1)
	v_mul_f32_e32 v7, 0x3fb8aa3b, v5
	s_waitcnt vmcnt(0)
	v_add_f32_e32 v6, v8, v6
	v_rndne_f32_e32 v10, v7
	v_fma_f32 v11, v5, s8, -v7
	v_sub_f32_e32 v6, v6, v5
	v_sub_f32_e32 v7, v7, v10
	v_fmac_f32_e32 v11, 0x32a5705f, v5
	v_mul_f32_e32 v12, 0x3fb8aa3b, v6
	v_add_f32_e32 v7, v7, v11
	v_fma_f32 v11, v6, s8, -v12
	v_rndne_f32_e32 v13, v12
	v_cvt_i32_f32_e32 v10, v10
	v_exp_f32_e32 v7, v7
	v_fmac_f32_e32 v11, 0x32a5705f, v6
	v_sub_f32_e32 v12, v12, v13
	v_add_f32_e32 v11, v12, v11
	v_cvt_i32_f32_e32 v13, v13
	v_exp_f32_e32 v11, v11
	v_ldexp_f32 v7, v7, v10
	v_cmp_ngt_f32_e32 vcc, s9, v5
	v_cndmask_b32_e32 v7, 0, v7, vcc
	v_cmp_nlt_f32_e32 vcc, s10, v5
	v_cndmask_b32_e32 v5, v4, v7, vcc
	v_ldexp_f32 v7, v11, v13
	v_cmp_ngt_f32_e32 vcc, s9, v6
	v_cndmask_b32_e32 v7, 0, v7, vcc
	v_cmp_nlt_f32_e32 vcc, s10, v6
	v_cndmask_b32_e32 v6, v4, v7, vcc
	v_sub_f32_e32 v5, v5, v6
	v_mul_f32_e32 v5, v9, v5
	s_branch .LBB17_12
.LBB17_15:
	s_endpgm
	.section	.rodata,"a",@progbits
	.p2align	6, 0x0
	.amdhsa_kernel _ZN2at6native12_GLOBAL__N_136ctc_loss_backward_collect_gpu_kernelIfiEEvPT_PKS3_lS6_S6_S6_PKllPKT0_S8_lS6_llllllllllllS8_llllb
		.amdhsa_group_segment_fixed_size 0
		.amdhsa_private_segment_fixed_size 0
		.amdhsa_kernarg_size 496
		.amdhsa_user_sgpr_count 6
		.amdhsa_user_sgpr_private_segment_buffer 1
		.amdhsa_user_sgpr_dispatch_ptr 0
		.amdhsa_user_sgpr_queue_ptr 0
		.amdhsa_user_sgpr_kernarg_segment_ptr 1
		.amdhsa_user_sgpr_dispatch_id 0
		.amdhsa_user_sgpr_flat_scratch_init 0
		.amdhsa_user_sgpr_private_segment_size 0
		.amdhsa_uses_dynamic_stack 0
		.amdhsa_system_sgpr_private_segment_wavefront_offset 0
		.amdhsa_system_sgpr_workgroup_id_x 1
		.amdhsa_system_sgpr_workgroup_id_y 1
		.amdhsa_system_sgpr_workgroup_id_z 0
		.amdhsa_system_sgpr_workgroup_info 0
		.amdhsa_system_vgpr_workitem_id 1
		.amdhsa_next_free_vgpr 31
		.amdhsa_next_free_sgpr 52
		.amdhsa_reserve_vcc 1
		.amdhsa_reserve_flat_scratch 0
		.amdhsa_float_round_mode_32 0
		.amdhsa_float_round_mode_16_64 0
		.amdhsa_float_denorm_mode_32 3
		.amdhsa_float_denorm_mode_16_64 3
		.amdhsa_dx10_clamp 1
		.amdhsa_ieee_mode 1
		.amdhsa_fp16_overflow 0
		.amdhsa_exception_fp_ieee_invalid_op 0
		.amdhsa_exception_fp_denorm_src 0
		.amdhsa_exception_fp_ieee_div_zero 0
		.amdhsa_exception_fp_ieee_overflow 0
		.amdhsa_exception_fp_ieee_underflow 0
		.amdhsa_exception_fp_ieee_inexact 0
		.amdhsa_exception_int_div_zero 0
	.end_amdhsa_kernel
	.section	.text._ZN2at6native12_GLOBAL__N_136ctc_loss_backward_collect_gpu_kernelIfiEEvPT_PKS3_lS6_S6_S6_PKllPKT0_S8_lS6_llllllllllllS8_llllb,"axG",@progbits,_ZN2at6native12_GLOBAL__N_136ctc_loss_backward_collect_gpu_kernelIfiEEvPT_PKS3_lS6_S6_S6_PKllPKT0_S8_lS6_llllllllllllS8_llllb,comdat
.Lfunc_end17:
	.size	_ZN2at6native12_GLOBAL__N_136ctc_loss_backward_collect_gpu_kernelIfiEEvPT_PKS3_lS6_S6_S6_PKllPKT0_S8_lS6_llllllllllllS8_llllb, .Lfunc_end17-_ZN2at6native12_GLOBAL__N_136ctc_loss_backward_collect_gpu_kernelIfiEEvPT_PKS3_lS6_S6_S6_PKllPKT0_S8_lS6_llllllllllllS8_llllb
                                        ; -- End function
	.set _ZN2at6native12_GLOBAL__N_136ctc_loss_backward_collect_gpu_kernelIfiEEvPT_PKS3_lS6_S6_S6_PKllPKT0_S8_lS6_llllllllllllS8_llllb.num_vgpr, 31
	.set _ZN2at6native12_GLOBAL__N_136ctc_loss_backward_collect_gpu_kernelIfiEEvPT_PKS3_lS6_S6_S6_PKllPKT0_S8_lS6_llllllllllllS8_llllb.num_agpr, 0
	.set _ZN2at6native12_GLOBAL__N_136ctc_loss_backward_collect_gpu_kernelIfiEEvPT_PKS3_lS6_S6_S6_PKllPKT0_S8_lS6_llllllllllllS8_llllb.numbered_sgpr, 52
	.set _ZN2at6native12_GLOBAL__N_136ctc_loss_backward_collect_gpu_kernelIfiEEvPT_PKS3_lS6_S6_S6_PKllPKT0_S8_lS6_llllllllllllS8_llllb.num_named_barrier, 0
	.set _ZN2at6native12_GLOBAL__N_136ctc_loss_backward_collect_gpu_kernelIfiEEvPT_PKS3_lS6_S6_S6_PKllPKT0_S8_lS6_llllllllllllS8_llllb.private_seg_size, 0
	.set _ZN2at6native12_GLOBAL__N_136ctc_loss_backward_collect_gpu_kernelIfiEEvPT_PKS3_lS6_S6_S6_PKllPKT0_S8_lS6_llllllllllllS8_llllb.uses_vcc, 1
	.set _ZN2at6native12_GLOBAL__N_136ctc_loss_backward_collect_gpu_kernelIfiEEvPT_PKS3_lS6_S6_S6_PKllPKT0_S8_lS6_llllllllllllS8_llllb.uses_flat_scratch, 0
	.set _ZN2at6native12_GLOBAL__N_136ctc_loss_backward_collect_gpu_kernelIfiEEvPT_PKS3_lS6_S6_S6_PKllPKT0_S8_lS6_llllllllllllS8_llllb.has_dyn_sized_stack, 0
	.set _ZN2at6native12_GLOBAL__N_136ctc_loss_backward_collect_gpu_kernelIfiEEvPT_PKS3_lS6_S6_S6_PKllPKT0_S8_lS6_llllllllllllS8_llllb.has_recursion, 0
	.set _ZN2at6native12_GLOBAL__N_136ctc_loss_backward_collect_gpu_kernelIfiEEvPT_PKS3_lS6_S6_S6_PKllPKT0_S8_lS6_llllllllllllS8_llllb.has_indirect_call, 0
	.section	.AMDGPU.csdata,"",@progbits
; Kernel info:
; codeLenInByte = 1788
; TotalNumSgprs: 56
; NumVgprs: 31
; ScratchSize: 0
; MemoryBound: 0
; FloatMode: 240
; IeeeMode: 1
; LDSByteSize: 0 bytes/workgroup (compile time only)
; SGPRBlocks: 6
; VGPRBlocks: 7
; NumSGPRsForWavesPerEU: 56
; NumVGPRsForWavesPerEU: 31
; Occupancy: 8
; WaveLimiterHint : 1
; COMPUTE_PGM_RSRC2:SCRATCH_EN: 0
; COMPUTE_PGM_RSRC2:USER_SGPR: 6
; COMPUTE_PGM_RSRC2:TRAP_HANDLER: 0
; COMPUTE_PGM_RSRC2:TGID_X_EN: 1
; COMPUTE_PGM_RSRC2:TGID_Y_EN: 1
; COMPUTE_PGM_RSRC2:TGID_Z_EN: 0
; COMPUTE_PGM_RSRC2:TIDIG_COMP_CNT: 1
	.section	.AMDGPU.gpr_maximums,"",@progbits
	.set amdgpu.max_num_vgpr, 0
	.set amdgpu.max_num_agpr, 0
	.set amdgpu.max_num_sgpr, 0
	.section	.AMDGPU.csdata,"",@progbits
	.type	__hip_cuid_49ee1968f115b7c0,@object ; @__hip_cuid_49ee1968f115b7c0
	.section	.bss,"aw",@nobits
	.globl	__hip_cuid_49ee1968f115b7c0
__hip_cuid_49ee1968f115b7c0:
	.byte	0                               ; 0x0
	.size	__hip_cuid_49ee1968f115b7c0, 1

	.ident	"AMD clang version 22.0.0git (https://github.com/RadeonOpenCompute/llvm-project roc-7.2.4 26084 f58b06dce1f9c15707c5f808fd002e18c2accf7e)"
	.section	".note.GNU-stack","",@progbits
	.addrsig
	.addrsig_sym __hip_cuid_49ee1968f115b7c0
	.amdgpu_metadata
---
amdhsa.kernels:
  - .args:
      - .address_space:  global
        .offset:         0
        .size:           8
        .value_kind:     global_buffer
      - .address_space:  global
        .offset:         8
        .size:           8
        .value_kind:     global_buffer
      - .actual_access:  read_only
        .address_space:  global
        .offset:         16
        .size:           8
        .value_kind:     global_buffer
      - .offset:         24
        .size:           8
        .value_kind:     by_value
      - .actual_access:  read_only
        .address_space:  global
        .offset:         32
        .size:           8
        .value_kind:     global_buffer
      - .actual_access:  read_only
        .address_space:  global
        .offset:         40
        .size:           8
        .value_kind:     global_buffer
      - .offset:         48
        .size:           8
        .value_kind:     by_value
      - .actual_access:  write_only
        .address_space:  global
        .offset:         56
        .size:           8
        .value_kind:     global_buffer
      - .offset:         64
        .size:           8
        .value_kind:     by_value
      - .offset:         72
        .size:           8
        .value_kind:     by_value
      - .offset:         80
        .size:           8
        .value_kind:     by_value
      - .offset:         88
        .size:           8
        .value_kind:     by_value
      - .offset:         96
        .size:           8
        .value_kind:     by_value
      - .offset:         104
        .size:           8
        .value_kind:     by_value
      - .actual_access:  read_only
        .address_space:  global
        .offset:         112
        .size:           8
        .value_kind:     global_buffer
      - .offset:         120
        .size:           8
        .value_kind:     by_value
      - .offset:         128
        .size:           8
        .value_kind:     by_value
      - .offset:         136
        .size:           8
        .value_kind:     by_value
      - .offset:         144
        .size:           4
        .value_kind:     hidden_block_count_x
      - .offset:         148
        .size:           4
        .value_kind:     hidden_block_count_y
      - .offset:         152
        .size:           4
        .value_kind:     hidden_block_count_z
      - .offset:         156
        .size:           2
        .value_kind:     hidden_group_size_x
      - .offset:         158
        .size:           2
        .value_kind:     hidden_group_size_y
      - .offset:         160
        .size:           2
        .value_kind:     hidden_group_size_z
      - .offset:         162
        .size:           2
        .value_kind:     hidden_remainder_x
      - .offset:         164
        .size:           2
        .value_kind:     hidden_remainder_y
      - .offset:         166
        .size:           2
        .value_kind:     hidden_remainder_z
      - .offset:         184
        .size:           8
        .value_kind:     hidden_global_offset_x
      - .offset:         192
        .size:           8
        .value_kind:     hidden_global_offset_y
      - .offset:         200
        .size:           8
        .value_kind:     hidden_global_offset_z
      - .offset:         208
        .size:           2
        .value_kind:     hidden_grid_dims
    .group_segment_fixed_size: 0
    .kernarg_segment_align: 8
    .kernarg_segment_size: 400
    .language:       OpenCL C
    .language_version:
      - 2
      - 0
    .max_flat_workgroup_size: 896
    .name:           _ZN2at6native12_GLOBAL__N_129ctc_loss_log_alpha_gpu_kernelIdlEEvPT_PKS3_PKllPKT0_S8_lS4_llllllS8_lll
    .private_segment_fixed_size: 0
    .sgpr_count:     100
    .sgpr_spill_count: 4
    .symbol:         _ZN2at6native12_GLOBAL__N_129ctc_loss_log_alpha_gpu_kernelIdlEEvPT_PKS3_PKllPKT0_S8_lS4_llllllS8_lll.kd
    .uniform_work_group_size: 1
    .uses_dynamic_stack: false
    .vgpr_count:     59
    .vgpr_spill_count: 0
    .wavefront_size: 64
  - .args:
      - .address_space:  global
        .offset:         0
        .size:           8
        .value_kind:     global_buffer
      - .address_space:  global
        .offset:         8
        .size:           8
        .value_kind:     global_buffer
      - .actual_access:  read_only
        .address_space:  global
        .offset:         16
        .size:           8
        .value_kind:     global_buffer
      - .offset:         24
        .size:           8
        .value_kind:     by_value
      - .actual_access:  read_only
        .address_space:  global
        .offset:         32
        .size:           8
        .value_kind:     global_buffer
      - .actual_access:  read_only
        .address_space:  global
        .offset:         40
        .size:           8
        .value_kind:     global_buffer
      - .offset:         48
        .size:           8
        .value_kind:     by_value
      - .actual_access:  write_only
        .address_space:  global
        .offset:         56
        .size:           8
        .value_kind:     global_buffer
      - .offset:         64
        .size:           8
        .value_kind:     by_value
      - .offset:         72
        .size:           8
        .value_kind:     by_value
      - .offset:         80
        .size:           8
        .value_kind:     by_value
      - .offset:         88
        .size:           8
        .value_kind:     by_value
      - .offset:         96
        .size:           8
        .value_kind:     by_value
      - .offset:         104
        .size:           8
        .value_kind:     by_value
      - .actual_access:  read_only
        .address_space:  global
        .offset:         112
        .size:           8
        .value_kind:     global_buffer
      - .offset:         120
        .size:           8
        .value_kind:     by_value
      - .offset:         128
        .size:           8
        .value_kind:     by_value
      - .offset:         136
        .size:           8
        .value_kind:     by_value
      - .offset:         144
        .size:           4
        .value_kind:     hidden_block_count_x
      - .offset:         148
        .size:           4
        .value_kind:     hidden_block_count_y
      - .offset:         152
        .size:           4
        .value_kind:     hidden_block_count_z
      - .offset:         156
        .size:           2
        .value_kind:     hidden_group_size_x
      - .offset:         158
        .size:           2
        .value_kind:     hidden_group_size_y
      - .offset:         160
        .size:           2
        .value_kind:     hidden_group_size_z
      - .offset:         162
        .size:           2
        .value_kind:     hidden_remainder_x
      - .offset:         164
        .size:           2
        .value_kind:     hidden_remainder_y
      - .offset:         166
        .size:           2
        .value_kind:     hidden_remainder_z
      - .offset:         184
        .size:           8
        .value_kind:     hidden_global_offset_x
      - .offset:         192
        .size:           8
        .value_kind:     hidden_global_offset_y
      - .offset:         200
        .size:           8
        .value_kind:     hidden_global_offset_z
      - .offset:         208
        .size:           2
        .value_kind:     hidden_grid_dims
    .group_segment_fixed_size: 0
    .kernarg_segment_align: 8
    .kernarg_segment_size: 400
    .language:       OpenCL C
    .language_version:
      - 2
      - 0
    .max_flat_workgroup_size: 896
    .name:           _ZN2at6native12_GLOBAL__N_129ctc_loss_log_alpha_gpu_kernelIdiEEvPT_PKS3_PKllPKT0_S8_lS4_llllllS8_lll
    .private_segment_fixed_size: 0
    .sgpr_count:     100
    .sgpr_spill_count: 4
    .symbol:         _ZN2at6native12_GLOBAL__N_129ctc_loss_log_alpha_gpu_kernelIdiEEvPT_PKS3_PKllPKT0_S8_lS4_llllllS8_lll.kd
    .uniform_work_group_size: 1
    .uses_dynamic_stack: false
    .vgpr_count:     59
    .vgpr_spill_count: 0
    .wavefront_size: 64
  - .args:
      - .address_space:  global
        .offset:         0
        .size:           8
        .value_kind:     global_buffer
      - .address_space:  global
        .offset:         8
        .size:           8
        .value_kind:     global_buffer
      - .actual_access:  read_only
        .address_space:  global
        .offset:         16
        .size:           8
        .value_kind:     global_buffer
      - .offset:         24
        .size:           8
        .value_kind:     by_value
      - .actual_access:  read_only
        .address_space:  global
        .offset:         32
        .size:           8
        .value_kind:     global_buffer
      - .actual_access:  read_only
        .address_space:  global
        .offset:         40
        .size:           8
        .value_kind:     global_buffer
      - .offset:         48
        .size:           8
        .value_kind:     by_value
      - .actual_access:  write_only
        .address_space:  global
        .offset:         56
        .size:           8
        .value_kind:     global_buffer
      - .offset:         64
        .size:           8
        .value_kind:     by_value
      - .offset:         72
        .size:           8
        .value_kind:     by_value
      - .offset:         80
        .size:           8
        .value_kind:     by_value
      - .offset:         88
        .size:           8
        .value_kind:     by_value
      - .offset:         96
        .size:           8
        .value_kind:     by_value
      - .offset:         104
        .size:           8
        .value_kind:     by_value
      - .actual_access:  read_only
        .address_space:  global
        .offset:         112
        .size:           8
        .value_kind:     global_buffer
      - .offset:         120
        .size:           8
        .value_kind:     by_value
      - .offset:         128
        .size:           8
        .value_kind:     by_value
      - .offset:         136
        .size:           8
        .value_kind:     by_value
      - .offset:         144
        .size:           4
        .value_kind:     hidden_block_count_x
      - .offset:         148
        .size:           4
        .value_kind:     hidden_block_count_y
      - .offset:         152
        .size:           4
        .value_kind:     hidden_block_count_z
      - .offset:         156
        .size:           2
        .value_kind:     hidden_group_size_x
      - .offset:         158
        .size:           2
        .value_kind:     hidden_group_size_y
      - .offset:         160
        .size:           2
        .value_kind:     hidden_group_size_z
      - .offset:         162
        .size:           2
        .value_kind:     hidden_remainder_x
      - .offset:         164
        .size:           2
        .value_kind:     hidden_remainder_y
      - .offset:         166
        .size:           2
        .value_kind:     hidden_remainder_z
      - .offset:         184
        .size:           8
        .value_kind:     hidden_global_offset_x
      - .offset:         192
        .size:           8
        .value_kind:     hidden_global_offset_y
      - .offset:         200
        .size:           8
        .value_kind:     hidden_global_offset_z
      - .offset:         208
        .size:           2
        .value_kind:     hidden_grid_dims
    .group_segment_fixed_size: 0
    .kernarg_segment_align: 8
    .kernarg_segment_size: 400
    .language:       OpenCL C
    .language_version:
      - 2
      - 0
    .max_flat_workgroup_size: 1024
    .name:           _ZN2at6native12_GLOBAL__N_129ctc_loss_log_alpha_gpu_kernelIflEEvPT_PKS3_PKllPKT0_S8_lS4_llllllS8_lll
    .private_segment_fixed_size: 0
    .sgpr_count:     63
    .sgpr_spill_count: 0
    .symbol:         _ZN2at6native12_GLOBAL__N_129ctc_loss_log_alpha_gpu_kernelIflEEvPT_PKS3_PKllPKT0_S8_lS4_llllllS8_lll.kd
    .uniform_work_group_size: 1
    .uses_dynamic_stack: false
    .vgpr_count:     47
    .vgpr_spill_count: 0
    .wavefront_size: 64
  - .args:
      - .address_space:  global
        .offset:         0
        .size:           8
        .value_kind:     global_buffer
      - .address_space:  global
        .offset:         8
        .size:           8
        .value_kind:     global_buffer
      - .actual_access:  read_only
        .address_space:  global
        .offset:         16
        .size:           8
        .value_kind:     global_buffer
      - .offset:         24
        .size:           8
        .value_kind:     by_value
      - .actual_access:  read_only
        .address_space:  global
        .offset:         32
        .size:           8
        .value_kind:     global_buffer
      - .actual_access:  read_only
        .address_space:  global
        .offset:         40
        .size:           8
        .value_kind:     global_buffer
      - .offset:         48
        .size:           8
        .value_kind:     by_value
      - .actual_access:  write_only
        .address_space:  global
        .offset:         56
        .size:           8
        .value_kind:     global_buffer
      - .offset:         64
        .size:           8
        .value_kind:     by_value
      - .offset:         72
        .size:           8
        .value_kind:     by_value
      - .offset:         80
        .size:           8
        .value_kind:     by_value
      - .offset:         88
        .size:           8
        .value_kind:     by_value
      - .offset:         96
        .size:           8
        .value_kind:     by_value
      - .offset:         104
        .size:           8
        .value_kind:     by_value
      - .actual_access:  read_only
        .address_space:  global
        .offset:         112
        .size:           8
        .value_kind:     global_buffer
      - .offset:         120
        .size:           8
        .value_kind:     by_value
      - .offset:         128
        .size:           8
        .value_kind:     by_value
      - .offset:         136
        .size:           8
        .value_kind:     by_value
      - .offset:         144
        .size:           4
        .value_kind:     hidden_block_count_x
      - .offset:         148
        .size:           4
        .value_kind:     hidden_block_count_y
      - .offset:         152
        .size:           4
        .value_kind:     hidden_block_count_z
      - .offset:         156
        .size:           2
        .value_kind:     hidden_group_size_x
      - .offset:         158
        .size:           2
        .value_kind:     hidden_group_size_y
      - .offset:         160
        .size:           2
        .value_kind:     hidden_group_size_z
      - .offset:         162
        .size:           2
        .value_kind:     hidden_remainder_x
      - .offset:         164
        .size:           2
        .value_kind:     hidden_remainder_y
      - .offset:         166
        .size:           2
        .value_kind:     hidden_remainder_z
      - .offset:         184
        .size:           8
        .value_kind:     hidden_global_offset_x
      - .offset:         192
        .size:           8
        .value_kind:     hidden_global_offset_y
      - .offset:         200
        .size:           8
        .value_kind:     hidden_global_offset_z
      - .offset:         208
        .size:           2
        .value_kind:     hidden_grid_dims
    .group_segment_fixed_size: 0
    .kernarg_segment_align: 8
    .kernarg_segment_size: 400
    .language:       OpenCL C
    .language_version:
      - 2
      - 0
    .max_flat_workgroup_size: 1024
    .name:           _ZN2at6native12_GLOBAL__N_129ctc_loss_log_alpha_gpu_kernelIfiEEvPT_PKS3_PKllPKT0_S8_lS4_llllllS8_lll
    .private_segment_fixed_size: 0
    .sgpr_count:     63
    .sgpr_spill_count: 0
    .symbol:         _ZN2at6native12_GLOBAL__N_129ctc_loss_log_alpha_gpu_kernelIfiEEvPT_PKS3_PKllPKT0_S8_lS4_llllllS8_lll.kd
    .uniform_work_group_size: 1
    .uses_dynamic_stack: false
    .vgpr_count:     47
    .vgpr_spill_count: 0
    .wavefront_size: 64
  - .args:
      - .address_space:  global
        .offset:         0
        .size:           8
        .value_kind:     global_buffer
      - .address_space:  global
        .offset:         8
        .size:           8
        .value_kind:     global_buffer
      - .actual_access:  read_only
        .address_space:  global
        .offset:         16
        .size:           8
        .value_kind:     global_buffer
      - .offset:         24
        .size:           8
        .value_kind:     by_value
      - .actual_access:  read_only
        .address_space:  global
        .offset:         32
        .size:           8
        .value_kind:     global_buffer
      - .actual_access:  read_only
        .address_space:  global
        .offset:         40
        .size:           8
        .value_kind:     global_buffer
      - .offset:         48
        .size:           8
        .value_kind:     by_value
      - .offset:         56
        .size:           8
        .value_kind:     by_value
      - .offset:         64
        .size:           8
        .value_kind:     by_value
      - .offset:         72
        .size:           8
        .value_kind:     by_value
      - .offset:         80
        .size:           8
        .value_kind:     by_value
      - .offset:         88
        .size:           8
        .value_kind:     by_value
      - .offset:         96
        .size:           8
        .value_kind:     by_value
      - .actual_access:  read_only
        .address_space:  global
        .offset:         104
        .size:           8
        .value_kind:     global_buffer
      - .offset:         112
        .size:           8
        .value_kind:     by_value
      - .offset:         120
        .size:           8
        .value_kind:     by_value
      - .offset:         128
        .size:           8
        .value_kind:     by_value
      - .offset:         136
        .size:           4
        .value_kind:     hidden_block_count_x
      - .offset:         140
        .size:           4
        .value_kind:     hidden_block_count_y
      - .offset:         144
        .size:           4
        .value_kind:     hidden_block_count_z
      - .offset:         148
        .size:           2
        .value_kind:     hidden_group_size_x
      - .offset:         150
        .size:           2
        .value_kind:     hidden_group_size_y
      - .offset:         152
        .size:           2
        .value_kind:     hidden_group_size_z
      - .offset:         154
        .size:           2
        .value_kind:     hidden_remainder_x
      - .offset:         156
        .size:           2
        .value_kind:     hidden_remainder_y
      - .offset:         158
        .size:           2
        .value_kind:     hidden_remainder_z
      - .offset:         176
        .size:           8
        .value_kind:     hidden_global_offset_x
      - .offset:         184
        .size:           8
        .value_kind:     hidden_global_offset_y
      - .offset:         192
        .size:           8
        .value_kind:     hidden_global_offset_z
      - .offset:         200
        .size:           2
        .value_kind:     hidden_grid_dims
    .group_segment_fixed_size: 0
    .kernarg_segment_align: 8
    .kernarg_segment_size: 392
    .language:       OpenCL C
    .language_version:
      - 2
      - 0
    .max_flat_workgroup_size: 896
    .name:           _ZN2at6native12_GLOBAL__N_137ctc_loss_backward_log_beta_gpu_kernelIdlEEvPT_PKS3_PKllPKT0_S8_lllllllS8_lll
    .private_segment_fixed_size: 0
    .sgpr_count:     100
    .sgpr_spill_count: 2
    .symbol:         _ZN2at6native12_GLOBAL__N_137ctc_loss_backward_log_beta_gpu_kernelIdlEEvPT_PKS3_PKllPKT0_S8_lllllllS8_lll.kd
    .uniform_work_group_size: 1
    .uses_dynamic_stack: false
    .vgpr_count:     59
    .vgpr_spill_count: 0
    .wavefront_size: 64
  - .args:
      - .address_space:  global
        .offset:         0
        .size:           8
        .value_kind:     global_buffer
      - .actual_access:  read_only
        .address_space:  global
        .offset:         8
        .size:           8
        .value_kind:     global_buffer
      - .offset:         16
        .size:           8
        .value_kind:     by_value
      - .actual_access:  read_only
        .address_space:  global
        .offset:         24
        .size:           8
        .value_kind:     global_buffer
      - .actual_access:  read_only
        .address_space:  global
        .offset:         32
        .size:           8
        .value_kind:     global_buffer
      - .address_space:  global
        .offset:         40
        .size:           8
        .value_kind:     global_buffer
      - .actual_access:  read_only
        .address_space:  global
        .offset:         48
        .size:           8
        .value_kind:     global_buffer
      - .actual_access:  read_only
        .address_space:  global
        .offset:         56
        .size:           8
        .value_kind:     global_buffer
      - .actual_access:  read_only
        .address_space:  global
        .offset:         64
        .size:           8
        .value_kind:     global_buffer
      - .actual_access:  read_only
        .address_space:  global
        .offset:         72
        .size:           8
        .value_kind:     global_buffer
      - .offset:         80
        .size:           8
        .value_kind:     by_value
      - .offset:         88
        .size:           8
        .value_kind:     by_value
      - .offset:         96
        .size:           8
        .value_kind:     by_value
      - .offset:         104
        .size:           8
        .value_kind:     by_value
      - .offset:         112
        .size:           8
        .value_kind:     by_value
      - .offset:         120
        .size:           8
        .value_kind:     by_value
      - .offset:         128
        .size:           8
        .value_kind:     by_value
      - .offset:         136
        .size:           8
        .value_kind:     by_value
      - .offset:         144
        .size:           8
        .value_kind:     by_value
      - .offset:         152
        .size:           8
        .value_kind:     by_value
      - .offset:         160
        .size:           8
        .value_kind:     by_value
      - .offset:         168
        .size:           8
        .value_kind:     by_value
      - .actual_access:  read_only
        .address_space:  global
        .offset:         176
        .size:           8
        .value_kind:     global_buffer
      - .offset:         184
        .size:           8
        .value_kind:     by_value
      - .offset:         192
        .size:           8
        .value_kind:     by_value
      - .offset:         200
        .size:           1
        .value_kind:     by_value
      - .offset:         208
        .size:           4
        .value_kind:     hidden_block_count_x
      - .offset:         212
        .size:           4
        .value_kind:     hidden_block_count_y
      - .offset:         216
        .size:           4
        .value_kind:     hidden_block_count_z
      - .offset:         220
        .size:           2
        .value_kind:     hidden_group_size_x
      - .offset:         222
        .size:           2
        .value_kind:     hidden_group_size_y
      - .offset:         224
        .size:           2
        .value_kind:     hidden_group_size_z
      - .offset:         226
        .size:           2
        .value_kind:     hidden_remainder_x
      - .offset:         228
        .size:           2
        .value_kind:     hidden_remainder_y
      - .offset:         230
        .size:           2
        .value_kind:     hidden_remainder_z
      - .offset:         248
        .size:           8
        .value_kind:     hidden_global_offset_x
      - .offset:         256
        .size:           8
        .value_kind:     hidden_global_offset_y
      - .offset:         264
        .size:           8
        .value_kind:     hidden_global_offset_z
      - .offset:         272
        .size:           2
        .value_kind:     hidden_grid_dims
    .group_segment_fixed_size: 0
    .kernarg_segment_align: 8
    .kernarg_segment_size: 464
    .language:       OpenCL C
    .language_version:
      - 2
      - 0
    .max_flat_workgroup_size: 896
    .name:           _ZN2at6native12_GLOBAL__N_145ctc_loss_backward_collect_nonblank_gpu_kernelIdlEEvPT_PKS3_lS6_S6_S6_PKlPKT0_S8_S6_llllllllllllS8_llb
    .private_segment_fixed_size: 0
    .sgpr_count:     56
    .sgpr_spill_count: 0
    .symbol:         _ZN2at6native12_GLOBAL__N_145ctc_loss_backward_collect_nonblank_gpu_kernelIdlEEvPT_PKS3_lS6_S6_S6_PKlPKT0_S8_S6_llllllllllllS8_llb.kd
    .uniform_work_group_size: 1
    .uses_dynamic_stack: false
    .vgpr_count:     29
    .vgpr_spill_count: 0
    .wavefront_size: 64
  - .args:
      - .address_space:  global
        .offset:         0
        .size:           8
        .value_kind:     global_buffer
      - .actual_access:  read_only
        .address_space:  global
        .offset:         8
        .size:           8
        .value_kind:     global_buffer
      - .offset:         16
        .size:           8
        .value_kind:     by_value
      - .actual_access:  read_only
        .address_space:  global
        .offset:         24
        .size:           8
        .value_kind:     global_buffer
      - .actual_access:  read_only
        .address_space:  global
        .offset:         32
        .size:           8
        .value_kind:     global_buffer
      - .address_space:  global
        .offset:         40
        .size:           8
        .value_kind:     global_buffer
      - .actual_access:  read_only
        .address_space:  global
        .offset:         48
        .size:           8
        .value_kind:     global_buffer
      - .offset:         56
        .size:           8
        .value_kind:     by_value
      - .actual_access:  read_only
        .address_space:  global
        .offset:         64
        .size:           8
        .value_kind:     global_buffer
      - .actual_access:  read_only
        .address_space:  global
        .offset:         72
        .size:           8
        .value_kind:     global_buffer
      - .offset:         80
        .size:           8
        .value_kind:     by_value
      - .actual_access:  read_only
        .address_space:  global
        .offset:         88
        .size:           8
        .value_kind:     global_buffer
      - .offset:         96
        .size:           8
        .value_kind:     by_value
      - .offset:         104
        .size:           8
        .value_kind:     by_value
      - .offset:         112
        .size:           8
        .value_kind:     by_value
      - .offset:         120
        .size:           8
        .value_kind:     by_value
      - .offset:         128
        .size:           8
        .value_kind:     by_value
      - .offset:         136
        .size:           8
        .value_kind:     by_value
      - .offset:         144
        .size:           8
        .value_kind:     by_value
      - .offset:         152
        .size:           8
        .value_kind:     by_value
      - .offset:         160
        .size:           8
        .value_kind:     by_value
      - .offset:         168
        .size:           8
        .value_kind:     by_value
      - .offset:         176
        .size:           8
        .value_kind:     by_value
      - .offset:         184
        .size:           8
        .value_kind:     by_value
      - .actual_access:  read_only
        .address_space:  global
        .offset:         192
        .size:           8
        .value_kind:     global_buffer
      - .offset:         200
        .size:           8
        .value_kind:     by_value
      - .offset:         208
        .size:           8
        .value_kind:     by_value
      - .offset:         216
        .size:           8
        .value_kind:     by_value
      - .offset:         224
        .size:           8
        .value_kind:     by_value
      - .offset:         232
        .size:           1
        .value_kind:     by_value
      - .offset:         240
        .size:           4
        .value_kind:     hidden_block_count_x
      - .offset:         244
        .size:           4
        .value_kind:     hidden_block_count_y
      - .offset:         248
        .size:           4
        .value_kind:     hidden_block_count_z
      - .offset:         252
        .size:           2
        .value_kind:     hidden_group_size_x
      - .offset:         254
        .size:           2
        .value_kind:     hidden_group_size_y
      - .offset:         256
        .size:           2
        .value_kind:     hidden_group_size_z
      - .offset:         258
        .size:           2
        .value_kind:     hidden_remainder_x
      - .offset:         260
        .size:           2
        .value_kind:     hidden_remainder_y
      - .offset:         262
        .size:           2
        .value_kind:     hidden_remainder_z
      - .offset:         280
        .size:           8
        .value_kind:     hidden_global_offset_x
      - .offset:         288
        .size:           8
        .value_kind:     hidden_global_offset_y
      - .offset:         296
        .size:           8
        .value_kind:     hidden_global_offset_z
      - .offset:         304
        .size:           2
        .value_kind:     hidden_grid_dims
    .group_segment_fixed_size: 0
    .kernarg_segment_align: 8
    .kernarg_segment_size: 496
    .language:       OpenCL C
    .language_version:
      - 2
      - 0
    .max_flat_workgroup_size: 896
    .name:           _ZN2at6native12_GLOBAL__N_136ctc_loss_backward_collect_gpu_kernelIdlEEvPT_PKS3_lS6_S6_S6_PKllPKT0_S8_lS6_llllllllllllS8_llllb
    .private_segment_fixed_size: 0
    .sgpr_count:     100
    .sgpr_spill_count: 0
    .symbol:         _ZN2at6native12_GLOBAL__N_136ctc_loss_backward_collect_gpu_kernelIdlEEvPT_PKS3_lS6_S6_S6_PKllPKT0_S8_lS6_llllllllllllS8_llllb.kd
    .uniform_work_group_size: 1
    .uses_dynamic_stack: false
    .vgpr_count:     50
    .vgpr_spill_count: 0
    .wavefront_size: 64
  - .args:
      - .actual_access:  write_only
        .address_space:  global
        .offset:         0
        .size:           8
        .value_kind:     global_buffer
      - .actual_access:  read_only
        .address_space:  global
        .offset:         8
        .size:           8
        .value_kind:     global_buffer
      - .offset:         16
        .size:           8
        .value_kind:     by_value
      - .offset:         24
        .size:           8
        .value_kind:     by_value
      - .offset:         32
        .size:           8
        .value_kind:     by_value
      - .offset:         40
        .size:           8
        .value_kind:     by_value
      - .offset:         48
        .size:           8
        .value_kind:     by_value
      - .offset:         56
        .size:           8
        .value_kind:     by_value
      - .offset:         64
        .size:           4
        .value_kind:     hidden_block_count_x
      - .offset:         68
        .size:           4
        .value_kind:     hidden_block_count_y
      - .offset:         72
        .size:           4
        .value_kind:     hidden_block_count_z
      - .offset:         76
        .size:           2
        .value_kind:     hidden_group_size_x
      - .offset:         78
        .size:           2
        .value_kind:     hidden_group_size_y
      - .offset:         80
        .size:           2
        .value_kind:     hidden_group_size_z
      - .offset:         82
        .size:           2
        .value_kind:     hidden_remainder_x
      - .offset:         84
        .size:           2
        .value_kind:     hidden_remainder_y
      - .offset:         86
        .size:           2
        .value_kind:     hidden_remainder_z
      - .offset:         104
        .size:           8
        .value_kind:     hidden_global_offset_x
      - .offset:         112
        .size:           8
        .value_kind:     hidden_global_offset_y
      - .offset:         120
        .size:           8
        .value_kind:     hidden_global_offset_z
      - .offset:         128
        .size:           2
        .value_kind:     hidden_grid_dims
    .group_segment_fixed_size: 0
    .kernarg_segment_align: 8
    .kernarg_segment_size: 320
    .language:       OpenCL C
    .language_version:
      - 2
      - 0
    .max_flat_workgroup_size: 896
    .name:           _ZN2at6native12_GLOBAL__N_130ctc_loss_zero_padded_gradientsIdEEvPT_PKlllllll
    .private_segment_fixed_size: 0
    .sgpr_count:     23
    .sgpr_spill_count: 0
    .symbol:         _ZN2at6native12_GLOBAL__N_130ctc_loss_zero_padded_gradientsIdEEvPT_PKlllllll.kd
    .uniform_work_group_size: 1
    .uses_dynamic_stack: false
    .vgpr_count:     12
    .vgpr_spill_count: 0
    .wavefront_size: 64
  - .args:
      - .address_space:  global
        .offset:         0
        .size:           8
        .value_kind:     global_buffer
      - .address_space:  global
        .offset:         8
        .size:           8
        .value_kind:     global_buffer
      - .actual_access:  read_only
        .address_space:  global
        .offset:         16
        .size:           8
        .value_kind:     global_buffer
      - .offset:         24
        .size:           8
        .value_kind:     by_value
      - .actual_access:  read_only
        .address_space:  global
        .offset:         32
        .size:           8
        .value_kind:     global_buffer
      - .actual_access:  read_only
        .address_space:  global
        .offset:         40
        .size:           8
        .value_kind:     global_buffer
      - .offset:         48
        .size:           8
        .value_kind:     by_value
      - .offset:         56
        .size:           8
        .value_kind:     by_value
      - .offset:         64
        .size:           8
        .value_kind:     by_value
      - .offset:         72
        .size:           8
        .value_kind:     by_value
      - .offset:         80
        .size:           8
        .value_kind:     by_value
      - .offset:         88
        .size:           8
        .value_kind:     by_value
      - .offset:         96
        .size:           8
        .value_kind:     by_value
      - .actual_access:  read_only
        .address_space:  global
        .offset:         104
        .size:           8
        .value_kind:     global_buffer
      - .offset:         112
        .size:           8
        .value_kind:     by_value
      - .offset:         120
        .size:           8
        .value_kind:     by_value
      - .offset:         128
        .size:           8
        .value_kind:     by_value
      - .offset:         136
        .size:           4
        .value_kind:     hidden_block_count_x
      - .offset:         140
        .size:           4
        .value_kind:     hidden_block_count_y
      - .offset:         144
        .size:           4
        .value_kind:     hidden_block_count_z
      - .offset:         148
        .size:           2
        .value_kind:     hidden_group_size_x
      - .offset:         150
        .size:           2
        .value_kind:     hidden_group_size_y
      - .offset:         152
        .size:           2
        .value_kind:     hidden_group_size_z
      - .offset:         154
        .size:           2
        .value_kind:     hidden_remainder_x
      - .offset:         156
        .size:           2
        .value_kind:     hidden_remainder_y
      - .offset:         158
        .size:           2
        .value_kind:     hidden_remainder_z
      - .offset:         176
        .size:           8
        .value_kind:     hidden_global_offset_x
      - .offset:         184
        .size:           8
        .value_kind:     hidden_global_offset_y
      - .offset:         192
        .size:           8
        .value_kind:     hidden_global_offset_z
      - .offset:         200
        .size:           2
        .value_kind:     hidden_grid_dims
    .group_segment_fixed_size: 0
    .kernarg_segment_align: 8
    .kernarg_segment_size: 392
    .language:       OpenCL C
    .language_version:
      - 2
      - 0
    .max_flat_workgroup_size: 896
    .name:           _ZN2at6native12_GLOBAL__N_137ctc_loss_backward_log_beta_gpu_kernelIdiEEvPT_PKS3_PKllPKT0_S8_lllllllS8_lll
    .private_segment_fixed_size: 0
    .sgpr_count:     100
    .sgpr_spill_count: 2
    .symbol:         _ZN2at6native12_GLOBAL__N_137ctc_loss_backward_log_beta_gpu_kernelIdiEEvPT_PKS3_PKllPKT0_S8_lllllllS8_lll.kd
    .uniform_work_group_size: 1
    .uses_dynamic_stack: false
    .vgpr_count:     59
    .vgpr_spill_count: 0
    .wavefront_size: 64
  - .args:
      - .address_space:  global
        .offset:         0
        .size:           8
        .value_kind:     global_buffer
      - .actual_access:  read_only
        .address_space:  global
        .offset:         8
        .size:           8
        .value_kind:     global_buffer
      - .offset:         16
        .size:           8
        .value_kind:     by_value
      - .actual_access:  read_only
        .address_space:  global
        .offset:         24
        .size:           8
        .value_kind:     global_buffer
      - .actual_access:  read_only
        .address_space:  global
        .offset:         32
        .size:           8
        .value_kind:     global_buffer
      - .address_space:  global
        .offset:         40
        .size:           8
        .value_kind:     global_buffer
      - .actual_access:  read_only
        .address_space:  global
        .offset:         48
        .size:           8
        .value_kind:     global_buffer
      - .actual_access:  read_only
        .address_space:  global
        .offset:         56
        .size:           8
        .value_kind:     global_buffer
      - .actual_access:  read_only
        .address_space:  global
        .offset:         64
        .size:           8
        .value_kind:     global_buffer
      - .actual_access:  read_only
        .address_space:  global
        .offset:         72
        .size:           8
        .value_kind:     global_buffer
      - .offset:         80
        .size:           8
        .value_kind:     by_value
      - .offset:         88
        .size:           8
        .value_kind:     by_value
      - .offset:         96
        .size:           8
        .value_kind:     by_value
      - .offset:         104
        .size:           8
        .value_kind:     by_value
      - .offset:         112
        .size:           8
        .value_kind:     by_value
      - .offset:         120
        .size:           8
        .value_kind:     by_value
      - .offset:         128
        .size:           8
        .value_kind:     by_value
      - .offset:         136
        .size:           8
        .value_kind:     by_value
      - .offset:         144
        .size:           8
        .value_kind:     by_value
      - .offset:         152
        .size:           8
        .value_kind:     by_value
      - .offset:         160
        .size:           8
        .value_kind:     by_value
      - .offset:         168
        .size:           8
        .value_kind:     by_value
      - .actual_access:  read_only
        .address_space:  global
        .offset:         176
        .size:           8
        .value_kind:     global_buffer
      - .offset:         184
        .size:           8
        .value_kind:     by_value
      - .offset:         192
        .size:           8
        .value_kind:     by_value
      - .offset:         200
        .size:           1
        .value_kind:     by_value
      - .offset:         208
        .size:           4
        .value_kind:     hidden_block_count_x
      - .offset:         212
        .size:           4
        .value_kind:     hidden_block_count_y
      - .offset:         216
        .size:           4
        .value_kind:     hidden_block_count_z
      - .offset:         220
        .size:           2
        .value_kind:     hidden_group_size_x
      - .offset:         222
        .size:           2
        .value_kind:     hidden_group_size_y
      - .offset:         224
        .size:           2
        .value_kind:     hidden_group_size_z
      - .offset:         226
        .size:           2
        .value_kind:     hidden_remainder_x
      - .offset:         228
        .size:           2
        .value_kind:     hidden_remainder_y
      - .offset:         230
        .size:           2
        .value_kind:     hidden_remainder_z
      - .offset:         248
        .size:           8
        .value_kind:     hidden_global_offset_x
      - .offset:         256
        .size:           8
        .value_kind:     hidden_global_offset_y
      - .offset:         264
        .size:           8
        .value_kind:     hidden_global_offset_z
      - .offset:         272
        .size:           2
        .value_kind:     hidden_grid_dims
    .group_segment_fixed_size: 0
    .kernarg_segment_align: 8
    .kernarg_segment_size: 464
    .language:       OpenCL C
    .language_version:
      - 2
      - 0
    .max_flat_workgroup_size: 896
    .name:           _ZN2at6native12_GLOBAL__N_145ctc_loss_backward_collect_nonblank_gpu_kernelIdiEEvPT_PKS3_lS6_S6_S6_PKlPKT0_S8_S6_llllllllllllS8_llb
    .private_segment_fixed_size: 0
    .sgpr_count:     68
    .sgpr_spill_count: 0
    .symbol:         _ZN2at6native12_GLOBAL__N_145ctc_loss_backward_collect_nonblank_gpu_kernelIdiEEvPT_PKS3_lS6_S6_S6_PKlPKT0_S8_S6_llllllllllllS8_llb.kd
    .uniform_work_group_size: 1
    .uses_dynamic_stack: false
    .vgpr_count:     28
    .vgpr_spill_count: 0
    .wavefront_size: 64
  - .args:
      - .address_space:  global
        .offset:         0
        .size:           8
        .value_kind:     global_buffer
      - .actual_access:  read_only
        .address_space:  global
        .offset:         8
        .size:           8
        .value_kind:     global_buffer
      - .offset:         16
        .size:           8
        .value_kind:     by_value
      - .actual_access:  read_only
        .address_space:  global
        .offset:         24
        .size:           8
        .value_kind:     global_buffer
      - .actual_access:  read_only
        .address_space:  global
        .offset:         32
        .size:           8
        .value_kind:     global_buffer
      - .address_space:  global
        .offset:         40
        .size:           8
        .value_kind:     global_buffer
      - .actual_access:  read_only
        .address_space:  global
        .offset:         48
        .size:           8
        .value_kind:     global_buffer
      - .offset:         56
        .size:           8
        .value_kind:     by_value
      - .actual_access:  read_only
        .address_space:  global
        .offset:         64
        .size:           8
        .value_kind:     global_buffer
      - .actual_access:  read_only
        .address_space:  global
        .offset:         72
        .size:           8
        .value_kind:     global_buffer
      - .offset:         80
        .size:           8
        .value_kind:     by_value
      - .actual_access:  read_only
        .address_space:  global
        .offset:         88
        .size:           8
        .value_kind:     global_buffer
      - .offset:         96
        .size:           8
        .value_kind:     by_value
      - .offset:         104
        .size:           8
        .value_kind:     by_value
      - .offset:         112
        .size:           8
        .value_kind:     by_value
      - .offset:         120
        .size:           8
        .value_kind:     by_value
      - .offset:         128
        .size:           8
        .value_kind:     by_value
      - .offset:         136
        .size:           8
        .value_kind:     by_value
      - .offset:         144
        .size:           8
        .value_kind:     by_value
      - .offset:         152
        .size:           8
        .value_kind:     by_value
      - .offset:         160
        .size:           8
        .value_kind:     by_value
      - .offset:         168
        .size:           8
        .value_kind:     by_value
      - .offset:         176
        .size:           8
        .value_kind:     by_value
      - .offset:         184
        .size:           8
        .value_kind:     by_value
      - .actual_access:  read_only
        .address_space:  global
        .offset:         192
        .size:           8
        .value_kind:     global_buffer
      - .offset:         200
        .size:           8
        .value_kind:     by_value
      - .offset:         208
        .size:           8
        .value_kind:     by_value
      - .offset:         216
        .size:           8
        .value_kind:     by_value
      - .offset:         224
        .size:           8
        .value_kind:     by_value
      - .offset:         232
        .size:           1
        .value_kind:     by_value
      - .offset:         240
        .size:           4
        .value_kind:     hidden_block_count_x
      - .offset:         244
        .size:           4
        .value_kind:     hidden_block_count_y
      - .offset:         248
        .size:           4
        .value_kind:     hidden_block_count_z
      - .offset:         252
        .size:           2
        .value_kind:     hidden_group_size_x
      - .offset:         254
        .size:           2
        .value_kind:     hidden_group_size_y
      - .offset:         256
        .size:           2
        .value_kind:     hidden_group_size_z
      - .offset:         258
        .size:           2
        .value_kind:     hidden_remainder_x
      - .offset:         260
        .size:           2
        .value_kind:     hidden_remainder_y
      - .offset:         262
        .size:           2
        .value_kind:     hidden_remainder_z
      - .offset:         280
        .size:           8
        .value_kind:     hidden_global_offset_x
      - .offset:         288
        .size:           8
        .value_kind:     hidden_global_offset_y
      - .offset:         296
        .size:           8
        .value_kind:     hidden_global_offset_z
      - .offset:         304
        .size:           2
        .value_kind:     hidden_grid_dims
    .group_segment_fixed_size: 0
    .kernarg_segment_align: 8
    .kernarg_segment_size: 496
    .language:       OpenCL C
    .language_version:
      - 2
      - 0
    .max_flat_workgroup_size: 896
    .name:           _ZN2at6native12_GLOBAL__N_136ctc_loss_backward_collect_gpu_kernelIdiEEvPT_PKS3_lS6_S6_S6_PKllPKT0_S8_lS6_llllllllllllS8_llllb
    .private_segment_fixed_size: 0
    .sgpr_count:     100
    .sgpr_spill_count: 0
    .symbol:         _ZN2at6native12_GLOBAL__N_136ctc_loss_backward_collect_gpu_kernelIdiEEvPT_PKS3_lS6_S6_S6_PKllPKT0_S8_lS6_llllllllllllS8_llllb.kd
    .uniform_work_group_size: 1
    .uses_dynamic_stack: false
    .vgpr_count:     50
    .vgpr_spill_count: 0
    .wavefront_size: 64
  - .args:
      - .address_space:  global
        .offset:         0
        .size:           8
        .value_kind:     global_buffer
      - .address_space:  global
        .offset:         8
        .size:           8
        .value_kind:     global_buffer
      - .actual_access:  read_only
        .address_space:  global
        .offset:         16
        .size:           8
        .value_kind:     global_buffer
      - .offset:         24
        .size:           8
        .value_kind:     by_value
      - .actual_access:  read_only
        .address_space:  global
        .offset:         32
        .size:           8
        .value_kind:     global_buffer
      - .actual_access:  read_only
        .address_space:  global
        .offset:         40
        .size:           8
        .value_kind:     global_buffer
      - .offset:         48
        .size:           8
        .value_kind:     by_value
      - .offset:         56
        .size:           8
        .value_kind:     by_value
      - .offset:         64
        .size:           8
        .value_kind:     by_value
      - .offset:         72
        .size:           8
        .value_kind:     by_value
      - .offset:         80
        .size:           8
        .value_kind:     by_value
      - .offset:         88
        .size:           8
        .value_kind:     by_value
      - .offset:         96
        .size:           8
        .value_kind:     by_value
      - .actual_access:  read_only
        .address_space:  global
        .offset:         104
        .size:           8
        .value_kind:     global_buffer
      - .offset:         112
        .size:           8
        .value_kind:     by_value
      - .offset:         120
        .size:           8
        .value_kind:     by_value
      - .offset:         128
        .size:           8
        .value_kind:     by_value
      - .offset:         136
        .size:           4
        .value_kind:     hidden_block_count_x
      - .offset:         140
        .size:           4
        .value_kind:     hidden_block_count_y
      - .offset:         144
        .size:           4
        .value_kind:     hidden_block_count_z
      - .offset:         148
        .size:           2
        .value_kind:     hidden_group_size_x
      - .offset:         150
        .size:           2
        .value_kind:     hidden_group_size_y
      - .offset:         152
        .size:           2
        .value_kind:     hidden_group_size_z
      - .offset:         154
        .size:           2
        .value_kind:     hidden_remainder_x
      - .offset:         156
        .size:           2
        .value_kind:     hidden_remainder_y
      - .offset:         158
        .size:           2
        .value_kind:     hidden_remainder_z
      - .offset:         176
        .size:           8
        .value_kind:     hidden_global_offset_x
      - .offset:         184
        .size:           8
        .value_kind:     hidden_global_offset_y
      - .offset:         192
        .size:           8
        .value_kind:     hidden_global_offset_z
      - .offset:         200
        .size:           2
        .value_kind:     hidden_grid_dims
    .group_segment_fixed_size: 0
    .kernarg_segment_align: 8
    .kernarg_segment_size: 392
    .language:       OpenCL C
    .language_version:
      - 2
      - 0
    .max_flat_workgroup_size: 1024
    .name:           _ZN2at6native12_GLOBAL__N_137ctc_loss_backward_log_beta_gpu_kernelIflEEvPT_PKS3_PKllPKT0_S8_lllllllS8_lll
    .private_segment_fixed_size: 0
    .sgpr_count:     63
    .sgpr_spill_count: 0
    .symbol:         _ZN2at6native12_GLOBAL__N_137ctc_loss_backward_log_beta_gpu_kernelIflEEvPT_PKS3_PKllPKT0_S8_lllllllS8_lll.kd
    .uniform_work_group_size: 1
    .uses_dynamic_stack: false
    .vgpr_count:     48
    .vgpr_spill_count: 0
    .wavefront_size: 64
  - .args:
      - .address_space:  global
        .offset:         0
        .size:           8
        .value_kind:     global_buffer
      - .actual_access:  read_only
        .address_space:  global
        .offset:         8
        .size:           8
        .value_kind:     global_buffer
      - .offset:         16
        .size:           8
        .value_kind:     by_value
      - .actual_access:  read_only
        .address_space:  global
        .offset:         24
        .size:           8
        .value_kind:     global_buffer
      - .actual_access:  read_only
        .address_space:  global
        .offset:         32
        .size:           8
        .value_kind:     global_buffer
      - .address_space:  global
        .offset:         40
        .size:           8
        .value_kind:     global_buffer
      - .actual_access:  read_only
        .address_space:  global
        .offset:         48
        .size:           8
        .value_kind:     global_buffer
      - .actual_access:  read_only
        .address_space:  global
        .offset:         56
        .size:           8
        .value_kind:     global_buffer
      - .actual_access:  read_only
        .address_space:  global
        .offset:         64
        .size:           8
        .value_kind:     global_buffer
      - .actual_access:  read_only
        .address_space:  global
        .offset:         72
        .size:           8
        .value_kind:     global_buffer
      - .offset:         80
        .size:           8
        .value_kind:     by_value
      - .offset:         88
        .size:           8
        .value_kind:     by_value
      - .offset:         96
        .size:           8
        .value_kind:     by_value
      - .offset:         104
        .size:           8
        .value_kind:     by_value
      - .offset:         112
        .size:           8
        .value_kind:     by_value
      - .offset:         120
        .size:           8
        .value_kind:     by_value
      - .offset:         128
        .size:           8
        .value_kind:     by_value
      - .offset:         136
        .size:           8
        .value_kind:     by_value
      - .offset:         144
        .size:           8
        .value_kind:     by_value
      - .offset:         152
        .size:           8
        .value_kind:     by_value
      - .offset:         160
        .size:           8
        .value_kind:     by_value
      - .offset:         168
        .size:           8
        .value_kind:     by_value
      - .actual_access:  read_only
        .address_space:  global
        .offset:         176
        .size:           8
        .value_kind:     global_buffer
      - .offset:         184
        .size:           8
        .value_kind:     by_value
      - .offset:         192
        .size:           8
        .value_kind:     by_value
      - .offset:         200
        .size:           1
        .value_kind:     by_value
      - .offset:         208
        .size:           4
        .value_kind:     hidden_block_count_x
      - .offset:         212
        .size:           4
        .value_kind:     hidden_block_count_y
      - .offset:         216
        .size:           4
        .value_kind:     hidden_block_count_z
      - .offset:         220
        .size:           2
        .value_kind:     hidden_group_size_x
      - .offset:         222
        .size:           2
        .value_kind:     hidden_group_size_y
      - .offset:         224
        .size:           2
        .value_kind:     hidden_group_size_z
      - .offset:         226
        .size:           2
        .value_kind:     hidden_remainder_x
      - .offset:         228
        .size:           2
        .value_kind:     hidden_remainder_y
      - .offset:         230
        .size:           2
        .value_kind:     hidden_remainder_z
      - .offset:         248
        .size:           8
        .value_kind:     hidden_global_offset_x
      - .offset:         256
        .size:           8
        .value_kind:     hidden_global_offset_y
      - .offset:         264
        .size:           8
        .value_kind:     hidden_global_offset_z
      - .offset:         272
        .size:           2
        .value_kind:     hidden_grid_dims
    .group_segment_fixed_size: 0
    .kernarg_segment_align: 8
    .kernarg_segment_size: 464
    .language:       OpenCL C
    .language_version:
      - 2
      - 0
    .max_flat_workgroup_size: 1024
    .name:           _ZN2at6native12_GLOBAL__N_145ctc_loss_backward_collect_nonblank_gpu_kernelIflEEvPT_PKS3_lS6_S6_S6_PKlPKT0_S8_S6_llllllllllllS8_llb
    .private_segment_fixed_size: 0
    .sgpr_count:     48
    .sgpr_spill_count: 0
    .symbol:         _ZN2at6native12_GLOBAL__N_145ctc_loss_backward_collect_nonblank_gpu_kernelIflEEvPT_PKS3_lS6_S6_S6_PKlPKT0_S8_S6_llllllllllllS8_llb.kd
    .uniform_work_group_size: 1
    .uses_dynamic_stack: false
    .vgpr_count:     28
    .vgpr_spill_count: 0
    .wavefront_size: 64
  - .args:
      - .address_space:  global
        .offset:         0
        .size:           8
        .value_kind:     global_buffer
      - .actual_access:  read_only
        .address_space:  global
        .offset:         8
        .size:           8
        .value_kind:     global_buffer
      - .offset:         16
        .size:           8
        .value_kind:     by_value
      - .actual_access:  read_only
        .address_space:  global
        .offset:         24
        .size:           8
        .value_kind:     global_buffer
      - .actual_access:  read_only
        .address_space:  global
        .offset:         32
        .size:           8
        .value_kind:     global_buffer
      - .address_space:  global
        .offset:         40
        .size:           8
        .value_kind:     global_buffer
      - .actual_access:  read_only
        .address_space:  global
        .offset:         48
        .size:           8
        .value_kind:     global_buffer
      - .offset:         56
        .size:           8
        .value_kind:     by_value
      - .actual_access:  read_only
        .address_space:  global
        .offset:         64
        .size:           8
        .value_kind:     global_buffer
      - .actual_access:  read_only
        .address_space:  global
        .offset:         72
        .size:           8
        .value_kind:     global_buffer
      - .offset:         80
        .size:           8
        .value_kind:     by_value
      - .actual_access:  read_only
        .address_space:  global
        .offset:         88
        .size:           8
        .value_kind:     global_buffer
      - .offset:         96
        .size:           8
        .value_kind:     by_value
      - .offset:         104
        .size:           8
        .value_kind:     by_value
      - .offset:         112
        .size:           8
        .value_kind:     by_value
      - .offset:         120
        .size:           8
        .value_kind:     by_value
      - .offset:         128
        .size:           8
        .value_kind:     by_value
      - .offset:         136
        .size:           8
        .value_kind:     by_value
      - .offset:         144
        .size:           8
        .value_kind:     by_value
      - .offset:         152
        .size:           8
        .value_kind:     by_value
      - .offset:         160
        .size:           8
        .value_kind:     by_value
      - .offset:         168
        .size:           8
        .value_kind:     by_value
      - .offset:         176
        .size:           8
        .value_kind:     by_value
      - .offset:         184
        .size:           8
        .value_kind:     by_value
      - .actual_access:  read_only
        .address_space:  global
        .offset:         192
        .size:           8
        .value_kind:     global_buffer
      - .offset:         200
        .size:           8
        .value_kind:     by_value
      - .offset:         208
        .size:           8
        .value_kind:     by_value
      - .offset:         216
        .size:           8
        .value_kind:     by_value
      - .offset:         224
        .size:           8
        .value_kind:     by_value
      - .offset:         232
        .size:           1
        .value_kind:     by_value
      - .offset:         240
        .size:           4
        .value_kind:     hidden_block_count_x
      - .offset:         244
        .size:           4
        .value_kind:     hidden_block_count_y
      - .offset:         248
        .size:           4
        .value_kind:     hidden_block_count_z
      - .offset:         252
        .size:           2
        .value_kind:     hidden_group_size_x
      - .offset:         254
        .size:           2
        .value_kind:     hidden_group_size_y
      - .offset:         256
        .size:           2
        .value_kind:     hidden_group_size_z
      - .offset:         258
        .size:           2
        .value_kind:     hidden_remainder_x
      - .offset:         260
        .size:           2
        .value_kind:     hidden_remainder_y
      - .offset:         262
        .size:           2
        .value_kind:     hidden_remainder_z
      - .offset:         280
        .size:           8
        .value_kind:     hidden_global_offset_x
      - .offset:         288
        .size:           8
        .value_kind:     hidden_global_offset_y
      - .offset:         296
        .size:           8
        .value_kind:     hidden_global_offset_z
      - .offset:         304
        .size:           2
        .value_kind:     hidden_grid_dims
    .group_segment_fixed_size: 0
    .kernarg_segment_align: 8
    .kernarg_segment_size: 496
    .language:       OpenCL C
    .language_version:
      - 2
      - 0
    .max_flat_workgroup_size: 1024
    .name:           _ZN2at6native12_GLOBAL__N_136ctc_loss_backward_collect_gpu_kernelIflEEvPT_PKS3_lS6_S6_S6_PKllPKT0_S8_lS6_llllllllllllS8_llllb
    .private_segment_fixed_size: 0
    .sgpr_count:     56
    .sgpr_spill_count: 0
    .symbol:         _ZN2at6native12_GLOBAL__N_136ctc_loss_backward_collect_gpu_kernelIflEEvPT_PKS3_lS6_S6_S6_PKllPKT0_S8_lS6_llllllllllllS8_llllb.kd
    .uniform_work_group_size: 1
    .uses_dynamic_stack: false
    .vgpr_count:     31
    .vgpr_spill_count: 0
    .wavefront_size: 64
  - .args:
      - .actual_access:  write_only
        .address_space:  global
        .offset:         0
        .size:           8
        .value_kind:     global_buffer
      - .actual_access:  read_only
        .address_space:  global
        .offset:         8
        .size:           8
        .value_kind:     global_buffer
      - .offset:         16
        .size:           8
        .value_kind:     by_value
      - .offset:         24
        .size:           8
        .value_kind:     by_value
      - .offset:         32
        .size:           8
        .value_kind:     by_value
      - .offset:         40
        .size:           8
        .value_kind:     by_value
      - .offset:         48
        .size:           8
        .value_kind:     by_value
      - .offset:         56
        .size:           8
        .value_kind:     by_value
      - .offset:         64
        .size:           4
        .value_kind:     hidden_block_count_x
      - .offset:         68
        .size:           4
        .value_kind:     hidden_block_count_y
      - .offset:         72
        .size:           4
        .value_kind:     hidden_block_count_z
      - .offset:         76
        .size:           2
        .value_kind:     hidden_group_size_x
      - .offset:         78
        .size:           2
        .value_kind:     hidden_group_size_y
      - .offset:         80
        .size:           2
        .value_kind:     hidden_group_size_z
      - .offset:         82
        .size:           2
        .value_kind:     hidden_remainder_x
      - .offset:         84
        .size:           2
        .value_kind:     hidden_remainder_y
      - .offset:         86
        .size:           2
        .value_kind:     hidden_remainder_z
      - .offset:         104
        .size:           8
        .value_kind:     hidden_global_offset_x
      - .offset:         112
        .size:           8
        .value_kind:     hidden_global_offset_y
      - .offset:         120
        .size:           8
        .value_kind:     hidden_global_offset_z
      - .offset:         128
        .size:           2
        .value_kind:     hidden_grid_dims
    .group_segment_fixed_size: 0
    .kernarg_segment_align: 8
    .kernarg_segment_size: 320
    .language:       OpenCL C
    .language_version:
      - 2
      - 0
    .max_flat_workgroup_size: 1024
    .name:           _ZN2at6native12_GLOBAL__N_130ctc_loss_zero_padded_gradientsIfEEvPT_PKlllllll
    .private_segment_fixed_size: 0
    .sgpr_count:     23
    .sgpr_spill_count: 0
    .symbol:         _ZN2at6native12_GLOBAL__N_130ctc_loss_zero_padded_gradientsIfEEvPT_PKlllllll.kd
    .uniform_work_group_size: 1
    .uses_dynamic_stack: false
    .vgpr_count:     9
    .vgpr_spill_count: 0
    .wavefront_size: 64
  - .args:
      - .address_space:  global
        .offset:         0
        .size:           8
        .value_kind:     global_buffer
      - .address_space:  global
        .offset:         8
        .size:           8
        .value_kind:     global_buffer
      - .actual_access:  read_only
        .address_space:  global
        .offset:         16
        .size:           8
        .value_kind:     global_buffer
      - .offset:         24
        .size:           8
        .value_kind:     by_value
      - .actual_access:  read_only
        .address_space:  global
        .offset:         32
        .size:           8
        .value_kind:     global_buffer
      - .actual_access:  read_only
        .address_space:  global
        .offset:         40
        .size:           8
        .value_kind:     global_buffer
      - .offset:         48
        .size:           8
        .value_kind:     by_value
      - .offset:         56
        .size:           8
        .value_kind:     by_value
      - .offset:         64
        .size:           8
        .value_kind:     by_value
      - .offset:         72
        .size:           8
        .value_kind:     by_value
      - .offset:         80
        .size:           8
        .value_kind:     by_value
      - .offset:         88
        .size:           8
        .value_kind:     by_value
      - .offset:         96
        .size:           8
        .value_kind:     by_value
      - .actual_access:  read_only
        .address_space:  global
        .offset:         104
        .size:           8
        .value_kind:     global_buffer
      - .offset:         112
        .size:           8
        .value_kind:     by_value
      - .offset:         120
        .size:           8
        .value_kind:     by_value
      - .offset:         128
        .size:           8
        .value_kind:     by_value
      - .offset:         136
        .size:           4
        .value_kind:     hidden_block_count_x
      - .offset:         140
        .size:           4
        .value_kind:     hidden_block_count_y
      - .offset:         144
        .size:           4
        .value_kind:     hidden_block_count_z
      - .offset:         148
        .size:           2
        .value_kind:     hidden_group_size_x
      - .offset:         150
        .size:           2
        .value_kind:     hidden_group_size_y
      - .offset:         152
        .size:           2
        .value_kind:     hidden_group_size_z
      - .offset:         154
        .size:           2
        .value_kind:     hidden_remainder_x
      - .offset:         156
        .size:           2
        .value_kind:     hidden_remainder_y
      - .offset:         158
        .size:           2
        .value_kind:     hidden_remainder_z
      - .offset:         176
        .size:           8
        .value_kind:     hidden_global_offset_x
      - .offset:         184
        .size:           8
        .value_kind:     hidden_global_offset_y
      - .offset:         192
        .size:           8
        .value_kind:     hidden_global_offset_z
      - .offset:         200
        .size:           2
        .value_kind:     hidden_grid_dims
    .group_segment_fixed_size: 0
    .kernarg_segment_align: 8
    .kernarg_segment_size: 392
    .language:       OpenCL C
    .language_version:
      - 2
      - 0
    .max_flat_workgroup_size: 1024
    .name:           _ZN2at6native12_GLOBAL__N_137ctc_loss_backward_log_beta_gpu_kernelIfiEEvPT_PKS3_PKllPKT0_S8_lllllllS8_lll
    .private_segment_fixed_size: 0
    .sgpr_count:     63
    .sgpr_spill_count: 0
    .symbol:         _ZN2at6native12_GLOBAL__N_137ctc_loss_backward_log_beta_gpu_kernelIfiEEvPT_PKS3_PKllPKT0_S8_lllllllS8_lll.kd
    .uniform_work_group_size: 1
    .uses_dynamic_stack: false
    .vgpr_count:     48
    .vgpr_spill_count: 0
    .wavefront_size: 64
  - .args:
      - .address_space:  global
        .offset:         0
        .size:           8
        .value_kind:     global_buffer
      - .actual_access:  read_only
        .address_space:  global
        .offset:         8
        .size:           8
        .value_kind:     global_buffer
      - .offset:         16
        .size:           8
        .value_kind:     by_value
      - .actual_access:  read_only
        .address_space:  global
        .offset:         24
        .size:           8
        .value_kind:     global_buffer
      - .actual_access:  read_only
        .address_space:  global
        .offset:         32
        .size:           8
        .value_kind:     global_buffer
      - .address_space:  global
        .offset:         40
        .size:           8
        .value_kind:     global_buffer
      - .actual_access:  read_only
        .address_space:  global
        .offset:         48
        .size:           8
        .value_kind:     global_buffer
      - .actual_access:  read_only
        .address_space:  global
        .offset:         56
        .size:           8
        .value_kind:     global_buffer
      - .actual_access:  read_only
        .address_space:  global
        .offset:         64
        .size:           8
        .value_kind:     global_buffer
      - .actual_access:  read_only
        .address_space:  global
        .offset:         72
        .size:           8
        .value_kind:     global_buffer
      - .offset:         80
        .size:           8
        .value_kind:     by_value
      - .offset:         88
        .size:           8
        .value_kind:     by_value
      - .offset:         96
        .size:           8
        .value_kind:     by_value
      - .offset:         104
        .size:           8
        .value_kind:     by_value
      - .offset:         112
        .size:           8
        .value_kind:     by_value
      - .offset:         120
        .size:           8
        .value_kind:     by_value
      - .offset:         128
        .size:           8
        .value_kind:     by_value
      - .offset:         136
        .size:           8
        .value_kind:     by_value
      - .offset:         144
        .size:           8
        .value_kind:     by_value
      - .offset:         152
        .size:           8
        .value_kind:     by_value
      - .offset:         160
        .size:           8
        .value_kind:     by_value
      - .offset:         168
        .size:           8
        .value_kind:     by_value
      - .actual_access:  read_only
        .address_space:  global
        .offset:         176
        .size:           8
        .value_kind:     global_buffer
      - .offset:         184
        .size:           8
        .value_kind:     by_value
      - .offset:         192
        .size:           8
        .value_kind:     by_value
      - .offset:         200
        .size:           1
        .value_kind:     by_value
      - .offset:         208
        .size:           4
        .value_kind:     hidden_block_count_x
      - .offset:         212
        .size:           4
        .value_kind:     hidden_block_count_y
      - .offset:         216
        .size:           4
        .value_kind:     hidden_block_count_z
      - .offset:         220
        .size:           2
        .value_kind:     hidden_group_size_x
      - .offset:         222
        .size:           2
        .value_kind:     hidden_group_size_y
      - .offset:         224
        .size:           2
        .value_kind:     hidden_group_size_z
      - .offset:         226
        .size:           2
        .value_kind:     hidden_remainder_x
      - .offset:         228
        .size:           2
        .value_kind:     hidden_remainder_y
      - .offset:         230
        .size:           2
        .value_kind:     hidden_remainder_z
      - .offset:         248
        .size:           8
        .value_kind:     hidden_global_offset_x
      - .offset:         256
        .size:           8
        .value_kind:     hidden_global_offset_y
      - .offset:         264
        .size:           8
        .value_kind:     hidden_global_offset_z
      - .offset:         272
        .size:           2
        .value_kind:     hidden_grid_dims
    .group_segment_fixed_size: 0
    .kernarg_segment_align: 8
    .kernarg_segment_size: 464
    .language:       OpenCL C
    .language_version:
      - 2
      - 0
    .max_flat_workgroup_size: 1024
    .name:           _ZN2at6native12_GLOBAL__N_145ctc_loss_backward_collect_nonblank_gpu_kernelIfiEEvPT_PKS3_lS6_S6_S6_PKlPKT0_S8_S6_llllllllllllS8_llb
    .private_segment_fixed_size: 0
    .sgpr_count:     48
    .sgpr_spill_count: 0
    .symbol:         _ZN2at6native12_GLOBAL__N_145ctc_loss_backward_collect_nonblank_gpu_kernelIfiEEvPT_PKS3_lS6_S6_S6_PKlPKT0_S8_S6_llllllllllllS8_llb.kd
    .uniform_work_group_size: 1
    .uses_dynamic_stack: false
    .vgpr_count:     28
    .vgpr_spill_count: 0
    .wavefront_size: 64
  - .args:
      - .address_space:  global
        .offset:         0
        .size:           8
        .value_kind:     global_buffer
      - .actual_access:  read_only
        .address_space:  global
        .offset:         8
        .size:           8
        .value_kind:     global_buffer
      - .offset:         16
        .size:           8
        .value_kind:     by_value
      - .actual_access:  read_only
        .address_space:  global
        .offset:         24
        .size:           8
        .value_kind:     global_buffer
      - .actual_access:  read_only
        .address_space:  global
        .offset:         32
        .size:           8
        .value_kind:     global_buffer
      - .address_space:  global
        .offset:         40
        .size:           8
        .value_kind:     global_buffer
      - .actual_access:  read_only
        .address_space:  global
        .offset:         48
        .size:           8
        .value_kind:     global_buffer
      - .offset:         56
        .size:           8
        .value_kind:     by_value
      - .actual_access:  read_only
        .address_space:  global
        .offset:         64
        .size:           8
        .value_kind:     global_buffer
      - .actual_access:  read_only
        .address_space:  global
        .offset:         72
        .size:           8
        .value_kind:     global_buffer
      - .offset:         80
        .size:           8
        .value_kind:     by_value
      - .actual_access:  read_only
        .address_space:  global
        .offset:         88
        .size:           8
        .value_kind:     global_buffer
      - .offset:         96
        .size:           8
        .value_kind:     by_value
      - .offset:         104
        .size:           8
        .value_kind:     by_value
      - .offset:         112
        .size:           8
        .value_kind:     by_value
      - .offset:         120
        .size:           8
        .value_kind:     by_value
      - .offset:         128
        .size:           8
        .value_kind:     by_value
      - .offset:         136
        .size:           8
        .value_kind:     by_value
      - .offset:         144
        .size:           8
        .value_kind:     by_value
      - .offset:         152
        .size:           8
        .value_kind:     by_value
      - .offset:         160
        .size:           8
        .value_kind:     by_value
      - .offset:         168
        .size:           8
        .value_kind:     by_value
      - .offset:         176
        .size:           8
        .value_kind:     by_value
      - .offset:         184
        .size:           8
        .value_kind:     by_value
      - .actual_access:  read_only
        .address_space:  global
        .offset:         192
        .size:           8
        .value_kind:     global_buffer
      - .offset:         200
        .size:           8
        .value_kind:     by_value
      - .offset:         208
        .size:           8
        .value_kind:     by_value
      - .offset:         216
        .size:           8
        .value_kind:     by_value
      - .offset:         224
        .size:           8
        .value_kind:     by_value
      - .offset:         232
        .size:           1
        .value_kind:     by_value
      - .offset:         240
        .size:           4
        .value_kind:     hidden_block_count_x
      - .offset:         244
        .size:           4
        .value_kind:     hidden_block_count_y
      - .offset:         248
        .size:           4
        .value_kind:     hidden_block_count_z
      - .offset:         252
        .size:           2
        .value_kind:     hidden_group_size_x
      - .offset:         254
        .size:           2
        .value_kind:     hidden_group_size_y
      - .offset:         256
        .size:           2
        .value_kind:     hidden_group_size_z
      - .offset:         258
        .size:           2
        .value_kind:     hidden_remainder_x
      - .offset:         260
        .size:           2
        .value_kind:     hidden_remainder_y
      - .offset:         262
        .size:           2
        .value_kind:     hidden_remainder_z
      - .offset:         280
        .size:           8
        .value_kind:     hidden_global_offset_x
      - .offset:         288
        .size:           8
        .value_kind:     hidden_global_offset_y
      - .offset:         296
        .size:           8
        .value_kind:     hidden_global_offset_z
      - .offset:         304
        .size:           2
        .value_kind:     hidden_grid_dims
    .group_segment_fixed_size: 0
    .kernarg_segment_align: 8
    .kernarg_segment_size: 496
    .language:       OpenCL C
    .language_version:
      - 2
      - 0
    .max_flat_workgroup_size: 1024
    .name:           _ZN2at6native12_GLOBAL__N_136ctc_loss_backward_collect_gpu_kernelIfiEEvPT_PKS3_lS6_S6_S6_PKllPKT0_S8_lS6_llllllllllllS8_llllb
    .private_segment_fixed_size: 0
    .sgpr_count:     56
    .sgpr_spill_count: 0
    .symbol:         _ZN2at6native12_GLOBAL__N_136ctc_loss_backward_collect_gpu_kernelIfiEEvPT_PKS3_lS6_S6_S6_PKllPKT0_S8_lS6_llllllllllllS8_llllb.kd
    .uniform_work_group_size: 1
    .uses_dynamic_stack: false
    .vgpr_count:     31
    .vgpr_spill_count: 0
    .wavefront_size: 64
amdhsa.target:   amdgcn-amd-amdhsa--gfx906
amdhsa.version:
  - 1
  - 2
...

	.end_amdgpu_metadata
